;; amdgpu-corpus repo=ROCm/rocFFT kind=compiled arch=gfx906 opt=O3
	.text
	.amdgcn_target "amdgcn-amd-amdhsa--gfx906"
	.amdhsa_code_object_version 6
	.protected	bluestein_single_back_len660_dim1_sp_op_CI_CI ; -- Begin function bluestein_single_back_len660_dim1_sp_op_CI_CI
	.globl	bluestein_single_back_len660_dim1_sp_op_CI_CI
	.p2align	8
	.type	bluestein_single_back_len660_dim1_sp_op_CI_CI,@function
bluestein_single_back_len660_dim1_sp_op_CI_CI: ; @bluestein_single_back_len660_dim1_sp_op_CI_CI
; %bb.0:
	s_load_dwordx4 s[0:3], s[4:5], 0x28
	v_mul_u32_u24_e32 v1, 0x254, v0
	v_add_u32_sdwa v52, s6, v1 dst_sel:DWORD dst_unused:UNUSED_PAD src0_sel:DWORD src1_sel:WORD_1
	v_mov_b32_e32 v53, 0
	s_waitcnt lgkmcnt(0)
	v_cmp_gt_u64_e32 vcc, s[0:1], v[52:53]
	s_and_saveexec_b64 s[0:1], vcc
	s_cbranch_execz .LBB0_23
; %bb.1:
	s_load_dwordx2 s[10:11], s[4:5], 0x0
	s_load_dwordx2 s[8:9], s[4:5], 0x38
	s_movk_i32 s0, 0x6e
	v_mul_lo_u16_sdwa v1, v1, s0 dst_sel:DWORD dst_unused:UNUSED_PAD src0_sel:WORD_1 src1_sel:DWORD
	v_sub_u16_e32 v60, v0, v1
	v_cmp_gt_u16_e64 s[0:1], 60, v60
	v_lshlrev_b32_e32 v59, 3, v60
	s_and_saveexec_b64 s[6:7], s[0:1]
	s_cbranch_execz .LBB0_3
; %bb.2:
	s_load_dwordx2 s[12:13], s[4:5], 0x18
	s_waitcnt lgkmcnt(0)
	v_mov_b32_e32 v28, s11
	s_load_dwordx4 s[12:15], s[12:13], 0x0
	s_waitcnt lgkmcnt(0)
	v_mad_u64_u32 v[0:1], s[16:17], s14, v52, 0
	v_mad_u64_u32 v[2:3], s[16:17], s12, v60, 0
	;; [unrolled: 1-line block ×4, first 2 shown]
	v_mov_b32_e32 v1, v4
	v_lshlrev_b64 v[0:1], 3, v[0:1]
	v_mov_b32_e32 v3, v5
	v_mov_b32_e32 v6, s3
	v_lshlrev_b64 v[2:3], 3, v[2:3]
	v_add_co_u32_e32 v0, vcc, s2, v0
	v_addc_co_u32_e32 v1, vcc, v6, v1, vcc
	v_add_co_u32_e32 v0, vcc, v0, v2
	s_mul_i32 s2, s13, 0x1e0
	s_mul_hi_u32 s3, s12, 0x1e0
	v_addc_co_u32_e32 v1, vcc, v1, v3, vcc
	s_add_i32 s3, s3, s2
	s_mul_i32 s2, s12, 0x1e0
	v_mov_b32_e32 v3, s3
	v_add_co_u32_e32 v2, vcc, s2, v0
	v_addc_co_u32_e32 v3, vcc, v1, v3, vcc
	v_mov_b32_e32 v13, s3
	v_add_co_u32_e32 v12, vcc, s2, v2
	v_addc_co_u32_e32 v13, vcc, v3, v13, vcc
	;; [unrolled: 3-line block ×3, first 2 shown]
	v_add_co_u32_e32 v40, vcc, s10, v59
	v_addc_co_u32_e32 v41, vcc, 0, v28, vcc
	global_load_dwordx2 v[4:5], v59, s[10:11]
	global_load_dwordx2 v[6:7], v59, s[10:11] offset:480
	global_load_dwordx2 v[8:9], v59, s[10:11] offset:960
	;; [unrolled: 1-line block ×3, first 2 shown]
	global_load_dwordx2 v[16:17], v[0:1], off
	global_load_dwordx2 v[18:19], v[2:3], off
	;; [unrolled: 1-line block ×4, first 2 shown]
	v_mov_b32_e32 v28, s3
	v_add_co_u32_e32 v14, vcc, s2, v14
	v_addc_co_u32_e32 v15, vcc, v15, v28, vcc
	v_mov_b32_e32 v29, s3
	v_add_co_u32_e32 v28, vcc, s2, v14
	v_addc_co_u32_e32 v29, vcc, v15, v29, vcc
	;; [unrolled: 3-line block ×3, first 2 shown]
	global_load_dwordx2 v[0:1], v59, s[10:11] offset:1920
	global_load_dwordx2 v[2:3], v59, s[10:11] offset:2400
	;; [unrolled: 1-line block ×5, first 2 shown]
	v_mov_b32_e32 v38, s3
	global_load_dwordx2 v[32:33], v[14:15], off
	global_load_dwordx2 v[34:35], v[28:29], off
	global_load_dwordx2 v[36:37], v[30:31], off
	v_add_co_u32_e32 v14, vcc, s2, v30
	v_addc_co_u32_e32 v15, vcc, v31, v38, vcc
	v_mov_b32_e32 v39, s3
	v_add_co_u32_e32 v28, vcc, s2, v14
	v_addc_co_u32_e32 v29, vcc, v15, v39, vcc
	global_load_dwordx2 v[30:31], v[14:15], off
	global_load_dwordx2 v[38:39], v[28:29], off
	v_mov_b32_e32 v15, s3
	v_add_co_u32_e32 v14, vcc, s2, v28
	v_addc_co_u32_e32 v15, vcc, v29, v15, vcc
	v_mov_b32_e32 v44, s3
	s_movk_i32 s3, 0x1000
	v_add_co_u32_e32 v40, vcc, s3, v40
	v_addc_co_u32_e32 v41, vcc, 0, v41, vcc
	global_load_dwordx2 v[28:29], v[14:15], off
	global_load_dwordx2 v[42:43], v[40:41], off offset:224
	v_add_co_u32_e32 v14, vcc, s2, v14
	v_addc_co_u32_e32 v15, vcc, v15, v44, vcc
	global_load_dwordx2 v[44:45], v[14:15], off
	global_load_dwordx2 v[46:47], v[40:41], off offset:704
	s_waitcnt vmcnt(17)
	v_mul_f32_e32 v14, v16, v5
	v_fma_f32 v15, v17, v4, -v14
	v_mul_f32_e32 v14, v17, v5
	v_fmac_f32_e32 v14, v16, v4
	s_waitcnt vmcnt(16)
	v_mul_f32_e32 v4, v18, v7
	v_fma_f32 v5, v19, v6, -v4
	v_mul_f32_e32 v4, v19, v7
	v_fmac_f32_e32 v4, v18, v6
	ds_write2_b64 v59, v[14:15], v[4:5] offset1:60
	s_waitcnt vmcnt(15)
	v_mul_f32_e32 v4, v20, v9
	s_waitcnt vmcnt(14)
	v_mul_f32_e32 v6, v22, v11
	v_fma_f32 v5, v21, v8, -v4
	v_mul_f32_e32 v4, v21, v9
	v_fma_f32 v7, v23, v10, -v6
	v_mul_f32_e32 v6, v23, v11
	v_fmac_f32_e32 v4, v20, v8
	v_fmac_f32_e32 v6, v22, v10
	ds_write2_b64 v59, v[4:5], v[6:7] offset0:120 offset1:180
	s_waitcnt vmcnt(8)
	v_mul_f32_e32 v4, v33, v1
	v_mul_f32_e32 v1, v32, v1
	v_fmac_f32_e32 v4, v32, v0
	v_fma_f32 v5, v33, v0, -v1
	s_waitcnt vmcnt(7)
	v_mul_f32_e32 v0, v35, v3
	v_mul_f32_e32 v1, v34, v3
	v_fmac_f32_e32 v0, v34, v2
	v_fma_f32 v1, v35, v2, -v1
	v_add_u32_e32 v2, 0x400, v59
	ds_write2_b64 v2, v[4:5], v[0:1] offset0:112 offset1:172
	s_waitcnt vmcnt(6)
	v_mul_f32_e32 v0, v37, v13
	v_mul_f32_e32 v1, v36, v13
	s_waitcnt vmcnt(5)
	v_mul_f32_e32 v2, v31, v25
	v_mul_f32_e32 v3, v30, v25
	v_fmac_f32_e32 v0, v36, v12
	v_fma_f32 v1, v37, v12, -v1
	v_fmac_f32_e32 v2, v30, v24
	v_fma_f32 v3, v31, v24, -v3
	v_add_u32_e32 v4, 0x800, v59
	ds_write2_b64 v4, v[0:1], v[2:3] offset0:104 offset1:164
	s_waitcnt vmcnt(4)
	v_mul_f32_e32 v0, v39, v27
	v_mul_f32_e32 v1, v38, v27
	v_fmac_f32_e32 v0, v38, v26
	v_fma_f32 v1, v39, v26, -v1
	v_add_u32_e32 v4, 0xc00, v59
	s_waitcnt vmcnt(2)
	v_mul_f32_e32 v2, v29, v43
	v_mul_f32_e32 v3, v28, v43
	v_fmac_f32_e32 v2, v28, v42
	v_fma_f32 v3, v29, v42, -v3
	ds_write2_b64 v4, v[0:1], v[2:3] offset0:96 offset1:156
	s_waitcnt vmcnt(0)
	v_mul_f32_e32 v0, v45, v47
	v_mul_f32_e32 v1, v44, v47
	v_fmac_f32_e32 v0, v44, v46
	v_fma_f32 v1, v45, v46, -v1
	ds_write_b64 v59, v[0:1] offset:4800
.LBB0_3:
	s_or_b64 exec, exec, s[6:7]
	s_load_dwordx2 s[2:3], s[4:5], 0x20
	s_load_dwordx2 s[12:13], s[4:5], 0x8
	v_mov_b32_e32 v0, 0
	v_mov_b32_e32 v1, 0
	s_waitcnt lgkmcnt(0)
	s_barrier
	s_waitcnt lgkmcnt(0)
                                        ; implicit-def: $vgpr4
                                        ; implicit-def: $vgpr16
                                        ; implicit-def: $vgpr20
                                        ; implicit-def: $vgpr14
                                        ; implicit-def: $vgpr10
	s_and_saveexec_b64 s[4:5], s[0:1]
	s_cbranch_execz .LBB0_5
; %bb.4:
	v_add_u32_e32 v4, 0x400, v59
	ds_read2_b64 v[0:3], v59 offset1:60
	ds_read2_b64 v[8:11], v59 offset0:120 offset1:180
	ds_read2_b64 v[12:15], v4 offset0:112 offset1:172
	v_add_u32_e32 v4, 0x800, v59
	v_add_u32_e32 v16, 0xc00, v59
	ds_read2_b64 v[4:7], v4 offset0:104 offset1:164
	ds_read2_b64 v[16:19], v16 offset0:96 offset1:156
	ds_read_b64 v[20:21], v59 offset:4800
.LBB0_5:
	s_or_b64 exec, exec, s[4:5]
	s_waitcnt lgkmcnt(0)
	v_sub_f32_e32 v28, v3, v21
	v_mul_f32_e32 v22, 0xbf0a6770, v28
	v_sub_f32_e32 v61, v9, v19
	v_add_f32_e32 v38, v20, v2
	v_sub_f32_e32 v29, v2, v20
	v_mov_b32_e32 v24, v22
	v_mul_f32_e32 v32, 0xbf68dda4, v61
	v_add_f32_e32 v39, v21, v3
	s_mov_b32 s4, 0x3f575c64
	v_mul_f32_e32 v23, 0xbf0a6770, v29
	v_fmac_f32_e32 v24, 0x3f575c64, v38
	v_add_f32_e32 v41, v18, v8
	v_mov_b32_e32 v26, v32
	v_sub_f32_e32 v91, v8, v18
	v_add_f32_e32 v24, v24, v0
	v_fma_f32 v25, v39, s4, -v23
	s_mov_b32 s5, 0x3ed4b147
	v_add_f32_e32 v42, v19, v9
	v_fmac_f32_e32 v26, 0x3ed4b147, v41
	v_mul_f32_e32 v33, 0xbf68dda4, v91
	v_sub_f32_e32 v88, v11, v17
	v_add_f32_e32 v25, v25, v1
	v_add_f32_e32 v24, v26, v24
	v_fma_f32 v26, v42, s5, -v33
	v_mul_f32_e32 v34, 0xbf7d64f0, v88
	v_add_f32_e32 v25, v26, v25
	v_add_f32_e32 v46, v16, v10
	v_mov_b32_e32 v26, v34
	v_sub_f32_e32 v92, v10, v16
	v_fmac_f32_e32 v26, 0xbe11bafb, v46
	s_mov_b32 s6, 0xbe11bafb
	v_add_f32_e32 v49, v17, v11
	v_mul_f32_e32 v35, 0xbf7d64f0, v92
	v_sub_f32_e32 v89, v13, v7
	v_add_f32_e32 v24, v26, v24
	v_fma_f32 v26, v49, s6, -v35
	v_mul_f32_e32 v36, 0xbf4178ce, v89
	v_add_f32_e32 v25, v26, v25
	v_add_f32_e32 v57, v6, v12
	v_mov_b32_e32 v26, v36
	v_sub_f32_e32 v96, v12, v6
	v_fmac_f32_e32 v26, 0xbf27a4f4, v57
	s_mov_b32 s7, 0xbf27a4f4
	v_add_f32_e32 v63, v7, v13
	v_mul_f32_e32 v37, 0xbf4178ce, v96
	v_sub_f32_e32 v90, v15, v5
	v_add_f32_e32 v24, v26, v24
	v_fma_f32 v26, v63, s7, -v37
	v_mul_f32_e32 v40, 0xbe903f40, v90
	v_add_f32_e32 v25, v26, v25
	v_add_f32_e32 v64, v4, v14
	v_mov_b32_e32 v26, v40
	v_sub_f32_e32 v97, v14, v4
	s_mov_b32 s14, 0xbf75a155
	v_fmac_f32_e32 v26, 0xbf75a155, v64
	v_add_f32_e32 v66, v5, v15
	v_mul_f32_e32 v43, 0xbe903f40, v97
	v_add_f32_e32 v53, v26, v24
	v_fma_f32 v24, v66, s14, -v43
	v_mul_f32_e32 v44, 0xbf68dda4, v28
	v_add_f32_e32 v54, v24, v25
	v_mov_b32_e32 v24, v44
	v_mul_f32_e32 v45, 0xbf4178ce, v61
	v_fmac_f32_e32 v24, 0x3ed4b147, v38
	v_mov_b32_e32 v25, v45
	v_add_f32_e32 v24, v24, v0
	v_fmac_f32_e32 v25, 0xbf27a4f4, v41
	v_mul_f32_e32 v50, 0xbf68dda4, v29
	v_add_f32_e32 v24, v25, v24
	v_fma_f32 v25, v39, s5, -v50
	v_mul_f32_e32 v51, 0xbf4178ce, v91
	v_add_f32_e32 v25, v25, v1
	v_fma_f32 v26, v42, s7, -v51
	v_mul_f32_e32 v47, 0x3e903f40, v88
	v_add_f32_e32 v25, v26, v25
	v_mov_b32_e32 v26, v47
	v_fmac_f32_e32 v26, 0xbf75a155, v46
	v_mul_f32_e32 v56, 0x3e903f40, v92
	v_add_f32_e32 v24, v26, v24
	v_fma_f32 v26, v49, s14, -v56
	v_mul_f32_e32 v48, 0x3f7d64f0, v89
	v_add_f32_e32 v25, v26, v25
	v_mov_b32_e32 v26, v48
	v_fmac_f32_e32 v26, 0xbe11bafb, v57
	;; [unrolled: 7-line block ×3, first 2 shown]
	v_mul_f32_e32 v62, 0x3f0a6770, v97
	v_mul_f32_e32 v65, 0xbf7d64f0, v28
	v_fma_f32 v27, v66, s4, -v62
	v_add_f32_e32 v26, v26, v24
	v_mov_b32_e32 v24, v65
	v_mul_f32_e32 v67, 0x3e903f40, v61
	v_add_f32_e32 v27, v27, v25
	v_fmac_f32_e32 v24, 0xbe11bafb, v38
	v_mov_b32_e32 v25, v67
	v_add_f32_e32 v24, v24, v0
	v_fmac_f32_e32 v25, 0xbf75a155, v41
	v_mul_f32_e32 v68, 0x3f68dda4, v88
	v_add_f32_e32 v24, v25, v24
	v_mov_b32_e32 v25, v68
	v_fmac_f32_e32 v25, 0x3ed4b147, v46
	v_mul_f32_e32 v69, 0xbf0a6770, v89
	v_add_f32_e32 v24, v25, v24
	v_mov_b32_e32 v25, v69
	;; [unrolled: 4-line block ×3, first 2 shown]
	v_fmac_f32_e32 v25, 0xbf27a4f4, v64
	v_mul_f32_e32 v71, 0xbf7d64f0, v29
	v_add_f32_e32 v24, v25, v24
	v_fma_f32 v25, v39, s6, -v71
	v_mul_f32_e32 v72, 0x3e903f40, v91
	v_add_f32_e32 v25, v25, v1
	v_fma_f32 v30, v42, s14, -v72
	;; [unrolled: 3-line block ×5, first 2 shown]
	v_mul_f32_e32 v76, 0xbf4178ce, v28
	v_add_f32_e32 v25, v30, v25
	v_mov_b32_e32 v30, v76
	v_mul_f32_e32 v77, 0x3f7d64f0, v61
	v_fmac_f32_e32 v30, 0xbf27a4f4, v38
	v_mov_b32_e32 v31, v77
	v_add_f32_e32 v30, v30, v0
	v_fmac_f32_e32 v31, 0xbe11bafb, v41
	v_mul_f32_e32 v80, 0xbf4178ce, v29
	v_add_f32_e32 v30, v31, v30
	v_fma_f32 v31, v39, s7, -v80
	v_mul_f32_e32 v81, 0x3f7d64f0, v91
	v_add_f32_e32 v31, v31, v1
	v_fma_f32 v78, v42, s6, -v81
	v_add_f32_e32 v31, v78, v31
	v_mul_f32_e32 v78, 0xbf0a6770, v88
	v_mov_b32_e32 v79, v78
	v_fmac_f32_e32 v79, 0x3f575c64, v46
	v_mul_f32_e32 v83, 0xbf0a6770, v92
	v_add_f32_e32 v30, v79, v30
	v_fma_f32 v79, v49, s4, -v83
	v_add_f32_e32 v31, v79, v31
	v_mul_f32_e32 v79, 0xbe903f40, v89
	v_mov_b32_e32 v82, v79
	v_fmac_f32_e32 v82, 0xbf75a155, v57
	v_mul_f32_e32 v84, 0xbe903f40, v96
	v_add_f32_e32 v30, v82, v30
	v_fma_f32 v82, v63, s14, -v84
	v_add_f32_e32 v31, v82, v31
	v_mul_f32_e32 v82, 0x3f68dda4, v90
	v_mul_f32_e32 v85, 0x3f68dda4, v97
	v_mov_b32_e32 v86, v82
	v_fma_f32 v87, v66, s5, -v85
	v_fmac_f32_e32 v86, 0x3ed4b147, v64
	v_add_f32_e32 v31, v87, v31
	v_mul_f32_e32 v87, 0xbe903f40, v28
	v_add_f32_e32 v30, v86, v30
	v_mov_b32_e32 v28, v87
	v_mul_f32_e32 v86, 0x3f0a6770, v61
	v_fmac_f32_e32 v28, 0xbf75a155, v38
	v_mov_b32_e32 v61, v86
	v_add_f32_e32 v28, v28, v0
	v_fmac_f32_e32 v61, 0x3f575c64, v41
	v_mul_f32_e32 v88, 0xbf4178ce, v88
	v_add_f32_e32 v28, v61, v28
	v_mov_b32_e32 v61, v88
	v_fmac_f32_e32 v61, 0xbf27a4f4, v46
	v_mul_f32_e32 v89, 0x3f68dda4, v89
	v_add_f32_e32 v28, v61, v28
	v_mov_b32_e32 v61, v89
	;; [unrolled: 4-line block ×3, first 2 shown]
	v_mul_f32_e32 v95, 0xbe903f40, v29
	v_fmac_f32_e32 v61, 0xbe11bafb, v64
	v_fma_f32 v29, v39, s14, -v95
	v_mul_f32_e32 v94, 0x3f0a6770, v91
	v_add_f32_e32 v28, v61, v28
	v_add_f32_e32 v29, v29, v1
	v_fma_f32 v61, v42, s4, -v94
	v_mul_f32_e32 v93, 0xbf4178ce, v92
	v_add_f32_e32 v29, v61, v29
	v_fma_f32 v61, v49, s7, -v93
	v_mul_f32_e32 v92, 0x3f68dda4, v96
	;; [unrolled: 3-line block ×3, first 2 shown]
	v_add_f32_e32 v29, v61, v29
	v_fma_f32 v61, v66, s6, -v91
	v_add_f32_e32 v29, v61, v29
	v_mul_lo_u16_e32 v61, 11, v60
	s_barrier
	s_and_saveexec_b64 s[4:5], s[0:1]
	s_cbranch_execz .LBB0_7
; %bb.6:
	v_mul_f32_e32 v96, 0x3f575c64, v38
	v_mul_f32_e32 v97, 0x3f575c64, v39
	v_mul_f32_e32 v98, 0x3ed4b147, v38
	v_mul_f32_e32 v99, 0x3ed4b147, v39
	v_mul_f32_e32 v100, 0xbe11bafb, v38
	v_mul_f32_e32 v101, 0xbe11bafb, v39
	v_mul_f32_e32 v102, 0xbf27a4f4, v38
	v_mul_f32_e32 v103, 0xbf27a4f4, v39
	v_mul_f32_e32 v38, 0xbf75a155, v38
	v_mul_f32_e32 v39, 0xbf75a155, v39
	v_mul_f32_e32 v104, 0x3ed4b147, v41
	v_mul_f32_e32 v105, 0x3ed4b147, v42
	v_mul_f32_e32 v106, 0xbf27a4f4, v41
	v_mul_f32_e32 v107, 0xbf27a4f4, v42
	v_mul_f32_e32 v108, 0xbf75a155, v41
	v_mul_f32_e32 v109, 0xbf75a155, v42
	v_mul_f32_e32 v110, 0xbe11bafb, v41
	v_mul_f32_e32 v111, 0xbe11bafb, v42
	v_mul_f32_e32 v41, 0x3f575c64, v41
	v_mul_f32_e32 v42, 0x3f575c64, v42
	v_add_f32_e32 v39, v95, v39
	v_sub_f32_e32 v38, v38, v87
	v_mul_f32_e32 v112, 0xbe11bafb, v46
	v_mul_f32_e32 v113, 0xbe11bafb, v49
	;; [unrolled: 1-line block ×10, first 2 shown]
	v_add_f32_e32 v42, v94, v42
	v_add_f32_e32 v39, v39, v1
	v_add_f32_e32 v38, v38, v0
	v_sub_f32_e32 v41, v41, v86
	v_mul_f32_e32 v120, 0xbf27a4f4, v57
	v_mul_f32_e32 v121, 0xbf27a4f4, v63
	;; [unrolled: 1-line block ×10, first 2 shown]
	v_add_f32_e32 v39, v42, v39
	v_add_f32_e32 v42, v93, v49
	;; [unrolled: 1-line block ×3, first 2 shown]
	v_sub_f32_e32 v41, v46, v88
	v_mul_f32_e32 v94, 0xbf75a155, v64
	v_mul_f32_e32 v49, 0x3f575c64, v64
	v_add_f32_e32 v39, v42, v39
	v_add_f32_e32 v42, v92, v63
	v_mul_f32_e32 v63, 0xbf27a4f4, v64
	v_mul_f32_e32 v87, 0x3ed4b147, v64
	;; [unrolled: 1-line block ×3, first 2 shown]
	v_add_f32_e32 v38, v41, v38
	v_sub_f32_e32 v41, v57, v89
	v_add_f32_e32 v39, v42, v39
	v_mul_f32_e32 v42, 0xbe11bafb, v66
	v_add_f32_e32 v38, v41, v38
	v_sub_f32_e32 v41, v64, v90
	v_add_f32_e32 v42, v91, v42
	v_add_f32_e32 v38, v41, v38
	;; [unrolled: 1-line block ×8, first 2 shown]
	v_mul_f32_e32 v127, 0xbf75a155, v66
	v_mul_f32_e32 v93, 0x3f575c64, v66
	;; [unrolled: 1-line block ×4, first 2 shown]
	v_add_f32_e32 v41, v42, v41
	v_add_f32_e32 v42, v84, v95
	;; [unrolled: 1-line block ×5, first 2 shown]
	v_sub_f32_e32 v41, v102, v76
	v_add_f32_e32 v41, v41, v0
	v_sub_f32_e32 v46, v110, v77
	v_add_f32_e32 v41, v46, v41
	;; [unrolled: 2-line block ×5, first 2 shown]
	v_add_f32_e32 v46, v71, v101
	v_add_f32_e32 v46, v46, v1
	;; [unrolled: 1-line block ×10, first 2 shown]
	v_sub_f32_e32 v46, v100, v65
	v_add_f32_e32 v46, v46, v0
	v_sub_f32_e32 v57, v108, v67
	v_add_f32_e32 v46, v57, v46
	;; [unrolled: 2-line block ×5, first 2 shown]
	v_add_f32_e32 v46, v50, v99
	v_sub_f32_e32 v44, v98, v44
	v_add_f32_e32 v23, v23, v97
	v_sub_f32_e32 v22, v96, v22
	v_add_f32_e32 v46, v46, v1
	v_add_f32_e32 v44, v44, v0
	;; [unrolled: 1-line block ×15, first 2 shown]
	v_sub_f32_e32 v32, v104, v32
	v_add_f32_e32 v1, v5, v1
	v_add_f32_e32 v0, v4, v0
	v_add_f32_e32 v50, v51, v107
	v_sub_f32_e32 v45, v106, v45
	v_add_f32_e32 v23, v33, v23
	v_add_f32_e32 v33, v35, v113
	v_add_f32_e32 v22, v32, v22
	;; [unrolled: 4-line block ×3, first 2 shown]
	v_add_f32_e32 v50, v56, v115
	v_add_f32_e32 v44, v45, v44
	v_sub_f32_e32 v45, v114, v47
	v_add_f32_e32 v23, v33, v23
	v_add_f32_e32 v33, v37, v121
	;; [unrolled: 1-line block ×3, first 2 shown]
	v_sub_f32_e32 v32, v120, v36
	v_add_f32_e32 v1, v17, v1
	v_add_f32_e32 v0, v16, v0
	;; [unrolled: 1-line block ×5, first 2 shown]
	v_sub_f32_e32 v45, v122, v48
	v_add_f32_e32 v23, v33, v23
	v_add_f32_e32 v33, v43, v127
	;; [unrolled: 1-line block ×3, first 2 shown]
	v_sub_f32_e32 v32, v94, v40
	v_add_f32_e32 v1, v19, v1
	v_add_f32_e32 v0, v18, v0
	;; [unrolled: 1-line block ×5, first 2 shown]
	v_sub_f32_e32 v45, v49, v55
	v_add_f32_e32 v23, v33, v23
	v_add_f32_e32 v22, v32, v22
	;; [unrolled: 1-line block ×4, first 2 shown]
	v_lshlrev_b32_e32 v2, 3, v61
	v_add_f32_e32 v46, v50, v46
	v_add_f32_e32 v45, v45, v44
	ds_write2_b64 v2, v[0:1], v[22:23] offset1:1
	ds_write2_b64 v2, v[45:46], v[63:64] offset0:2 offset1:3
	ds_write2_b64 v2, v[41:42], v[38:39] offset0:4 offset1:5
	;; [unrolled: 1-line block ×4, first 2 shown]
	ds_write_b64 v2, v[53:54] offset:80
.LBB0_7:
	s_or_b64 exec, exec, s[4:5]
	s_load_dwordx4 s[4:7], s[2:3], 0x0
	s_movk_i32 s2, 0x75
	v_mul_lo_u16_sdwa v0, v60, s2 dst_sel:DWORD dst_unused:UNUSED_PAD src0_sel:BYTE_0 src1_sel:DWORD
	v_sub_u16_sdwa v1, v60, v0 dst_sel:DWORD dst_unused:UNUSED_PAD src0_sel:DWORD src1_sel:BYTE_1
	v_lshrrev_b16_e32 v1, 1, v1
	v_and_b32_e32 v1, 0x7f, v1
	v_add_u16_sdwa v0, v1, v0 dst_sel:DWORD dst_unused:UNUSED_PAD src0_sel:DWORD src1_sel:BYTE_1
	v_lshrrev_b16_e32 v20, 3, v0
	v_mul_lo_u16_e32 v0, 11, v20
	v_sub_u16_e32 v0, v60, v0
	v_and_b32_e32 v21, 0xff, v0
	v_mad_u64_u32 v[8:9], s[2:3], v21, 40, s[12:13]
	s_waitcnt lgkmcnt(0)
	s_barrier
	global_load_dwordx4 v[4:7], v[8:9], off
	global_load_dwordx4 v[0:3], v[8:9], off offset:16
	global_load_dwordx2 v[55:56], v[8:9], off offset:32
	v_add_u32_e32 v12, 0x400, v59
	v_add_u32_e32 v16, 0xc00, v59
	ds_read2_b64 v[8:11], v59 offset1:110
	ds_read2_b64 v[12:15], v12 offset0:92 offset1:202
	ds_read2_b64 v[16:19], v16 offset0:56 offset1:166
	v_mul_u32_u24_e32 v20, 0x42, v20
	v_add_lshl_u32 v62, v20, v21, 3
	s_movk_i32 s2, 0x42
	v_cmp_gt_u16_e64 s[2:3], s2, v60
	s_waitcnt vmcnt(0) lgkmcnt(0)
	s_barrier
	v_mul_f32_e32 v21, v10, v5
	v_mul_f32_e32 v22, v13, v7
	;; [unrolled: 1-line block ×9, first 2 shown]
	v_fmac_f32_e32 v21, v11, v4
	v_fma_f32 v11, v12, v6, -v22
	v_fmac_f32_e32 v23, v13, v6
	v_fma_f32 v12, v14, v0, -v32
	v_fmac_f32_e32 v33, v15, v0
	v_fmac_f32_e32 v35, v17, v2
	v_fma_f32 v14, v18, v55, -v36
	v_fmac_f32_e32 v37, v19, v55
	v_mul_f32_e32 v34, v17, v3
	v_fma_f32 v10, v10, v4, -v20
	v_sub_f32_e32 v17, v23, v35
	v_add_f32_e32 v18, v9, v23
	v_add_f32_e32 v19, v23, v35
	;; [unrolled: 1-line block ×3, first 2 shown]
	v_sub_f32_e32 v23, v33, v37
	v_add_f32_e32 v32, v21, v33
	v_add_f32_e32 v33, v33, v37
	v_fma_f32 v13, v16, v2, -v34
	v_add_f32_e32 v20, v10, v12
	v_fmac_f32_e32 v10, -0.5, v22
	v_fmac_f32_e32 v21, -0.5, v33
	v_add_f32_e32 v15, v8, v11
	v_add_f32_e32 v16, v11, v13
	v_sub_f32_e32 v12, v12, v14
	v_fma_f32 v9, -0.5, v19, v9
	v_add_f32_e32 v14, v20, v14
	v_mov_b32_e32 v20, v10
	v_mov_b32_e32 v22, v21
	v_sub_f32_e32 v11, v11, v13
	v_add_f32_e32 v13, v15, v13
	v_fma_f32 v8, -0.5, v16, v8
	v_mov_b32_e32 v19, v9
	v_fmac_f32_e32 v10, 0xbf5db3d7, v23
	v_fmac_f32_e32 v21, 0x3f5db3d7, v12
	;; [unrolled: 1-line block ×4, first 2 shown]
	v_add_f32_e32 v15, v18, v35
	v_mov_b32_e32 v18, v8
	v_fmac_f32_e32 v9, 0x3f5db3d7, v11
	v_add_f32_e32 v40, v13, v14
	v_sub_f32_e32 v34, v13, v14
	v_fmac_f32_e32 v19, 0xbf5db3d7, v11
	v_mul_f32_e32 v11, -0.5, v10
	v_mul_f32_e32 v12, -0.5, v21
	v_mul_f32_e32 v13, 0x3f5db3d7, v22
	v_mul_f32_e32 v14, 0xbf5db3d7, v20
	v_add_f32_e32 v16, v32, v37
	v_fmac_f32_e32 v8, 0xbf5db3d7, v17
	v_fmac_f32_e32 v18, 0x3f5db3d7, v17
	;; [unrolled: 1-line block ×4, first 2 shown]
	v_fmac_f32_e32 v13, 0.5, v20
	v_fmac_f32_e32 v14, 0.5, v22
	v_add_f32_e32 v41, v15, v16
	v_sub_f32_e32 v35, v15, v16
	v_add_f32_e32 v32, v8, v11
	v_add_f32_e32 v33, v9, v12
	v_sub_f32_e32 v38, v8, v11
	v_sub_f32_e32 v39, v9, v12
	v_add_f32_e32 v42, v18, v13
	v_add_f32_e32 v43, v19, v14
	v_sub_f32_e32 v36, v18, v13
	v_sub_f32_e32 v37, v19, v14
	ds_write2_b64 v62, v[32:33], v[34:35] offset0:22 offset1:33
	ds_write2_b64 v62, v[40:41], v[42:43] offset1:11
	ds_write2_b64 v62, v[36:37], v[38:39] offset0:44 offset1:55
	s_waitcnt lgkmcnt(0)
	s_barrier
	s_and_saveexec_b64 s[14:15], s[2:3]
	s_cbranch_execz .LBB0_9
; %bb.8:
	v_add_u32_e32 v8, 0x800, v59
	ds_read2_b64 v[40:43], v59 offset1:66
	ds_read2_b64 v[32:35], v59 offset0:132 offset1:198
	ds_read2_b64 v[36:39], v8 offset0:8 offset1:74
	;; [unrolled: 1-line block ×3, first 2 shown]
	v_add_u32_e32 v8, 0x1000, v59
	ds_read2_b64 v[24:27], v8 offset0:16 offset1:82
.LBB0_9:
	s_or_b64 exec, exec, s[14:15]
	v_add_u32_e32 v8, 0xffffffbe, v60
	v_cndmask_b32_e64 v8, v8, v60, s[2:3]
	v_mul_hi_i32_i24_e32 v9, 0x48, v8
	v_mul_i32_i24_e32 v8, 0x48, v8
	v_mov_b32_e32 v10, s13
	v_add_co_u32_e32 v44, vcc, s12, v8
	v_addc_co_u32_e32 v45, vcc, v10, v9, vcc
	global_load_dwordx4 v[8:11], v[44:45], off offset:440
	global_load_dwordx4 v[20:23], v[44:45], off offset:456
	;; [unrolled: 1-line block ×4, first 2 shown]
	global_load_dwordx2 v[57:58], v[44:45], off offset:504
	s_mov_b32 s14, 0x3f737871
	s_mov_b32 s15, 0x3f167918
	;; [unrolled: 1-line block ×4, first 2 shown]
	s_waitcnt vmcnt(4) lgkmcnt(3)
	v_mul_f32_e32 v47, v32, v11
	s_waitcnt vmcnt(3)
	v_mul_f32_e32 v48, v35, v21
	s_waitcnt lgkmcnt(2)
	v_mul_f32_e32 v50, v37, v23
	s_waitcnt vmcnt(2) lgkmcnt(1)
	v_mul_f32_e32 v65, v29, v19
	v_mul_f32_e32 v46, v33, v11
	;; [unrolled: 1-line block ×4, first 2 shown]
	s_waitcnt vmcnt(1) lgkmcnt(0)
	v_mul_f32_e32 v69, v25, v15
	s_waitcnt vmcnt(0)
	v_mul_f32_e32 v72, v26, v58
	v_fmac_f32_e32 v47, v33, v10
	v_fma_f32 v33, v34, v20, -v48
	v_fma_f32 v34, v36, v22, -v50
	;; [unrolled: 1-line block ×3, first 2 shown]
	v_mul_f32_e32 v51, v36, v23
	v_mul_f32_e32 v63, v39, v17
	;; [unrolled: 1-line block ×4, first 2 shown]
	v_fma_f32 v32, v32, v10, -v46
	v_fma_f32 v24, v24, v14, -v69
	v_fmac_f32_e32 v72, v27, v57
	v_add_f32_e32 v27, v34, v28
	v_mul_f32_e32 v45, v42, v9
	v_mul_f32_e32 v64, v38, v17
	v_mul_f32_e32 v67, v31, v13
	v_fmac_f32_e32 v49, v35, v20
	v_fmac_f32_e32 v51, v37, v22
	v_fma_f32 v35, v38, v16, -v63
	v_fmac_f32_e32 v66, v29, v18
	v_fmac_f32_e32 v70, v25, v14
	v_add_f32_e32 v38, v32, v24
	v_fma_f32 v48, -0.5, v27, v40
	v_mul_f32_e32 v44, v43, v9
	v_mul_f32_e32 v68, v30, v13
	v_fmac_f32_e32 v45, v43, v8
	v_fmac_f32_e32 v64, v39, v16
	v_fma_f32 v29, v30, v12, -v67
	v_fma_f32 v25, v26, v57, -v71
	v_add_f32_e32 v26, v40, v32
	v_sub_f32_e32 v30, v47, v70
	v_sub_f32_e32 v36, v32, v34
	;; [unrolled: 1-line block ×5, first 2 shown]
	v_add_f32_e32 v46, v51, v66
	v_fmac_f32_e32 v40, -0.5, v38
	v_mov_b32_e32 v38, v48
	v_fma_f32 v42, v42, v8, -v44
	v_fmac_f32_e32 v68, v31, v12
	v_sub_f32_e32 v31, v51, v66
	v_add_f32_e32 v44, v41, v47
	v_add_f32_e32 v26, v26, v34
	;; [unrolled: 1-line block ×4, first 2 shown]
	v_fma_f32 v43, -0.5, v46, v41
	v_fmac_f32_e32 v48, 0xbf737871, v30
	v_fmac_f32_e32 v38, 0x3f737871, v30
	v_sub_f32_e32 v32, v32, v24
	v_add_f32_e32 v37, v44, v51
	v_add_f32_e32 v26, v26, v28
	v_mov_b32_e32 v44, v43
	v_fmac_f32_e32 v48, 0xbf167918, v31
	v_fmac_f32_e32 v38, 0x3f167918, v31
	v_add_f32_e32 v46, v26, v24
	v_fmac_f32_e32 v48, 0x3e9e377a, v27
	v_fmac_f32_e32 v38, 0x3e9e377a, v27
	;; [unrolled: 1-line block ×3, first 2 shown]
	v_sub_f32_e32 v24, v34, v28
	v_sub_f32_e32 v26, v47, v51
	;; [unrolled: 1-line block ×3, first 2 shown]
	v_fmac_f32_e32 v43, 0x3f737871, v32
	v_fmac_f32_e32 v44, 0xbf167918, v24
	v_add_f32_e32 v26, v26, v27
	v_fmac_f32_e32 v43, 0x3f167918, v24
	v_fmac_f32_e32 v44, 0x3e9e377a, v26
	;; [unrolled: 1-line block ×3, first 2 shown]
	v_add_f32_e32 v26, v47, v70
	v_fmac_f32_e32 v41, -0.5, v26
	v_mov_b32_e32 v50, v41
	v_fmac_f32_e32 v50, 0x3f737871, v24
	v_fmac_f32_e32 v41, 0xbf737871, v24
	v_add_f32_e32 v24, v42, v33
	v_mov_b32_e32 v39, v40
	v_add_f32_e32 v24, v24, v35
	v_fmac_f32_e32 v40, 0x3f737871, v31
	v_fmac_f32_e32 v39, 0xbf737871, v31
	v_add_f32_e32 v24, v24, v29
	v_fmac_f32_e32 v40, 0xbf167918, v30
	v_fmac_f32_e32 v39, 0x3f167918, v30
	v_add_f32_e32 v34, v24, v25
	v_add_f32_e32 v24, v35, v29
	v_fmac_f32_e32 v40, 0x3e9e377a, v36
	v_fmac_f32_e32 v39, 0x3e9e377a, v36
	v_sub_f32_e32 v26, v51, v47
	v_sub_f32_e32 v27, v66, v70
	v_fma_f32 v36, -0.5, v24, v42
	v_fmac_f32_e32 v50, 0xbf167918, v32
	v_add_f32_e32 v26, v26, v27
	v_fmac_f32_e32 v41, 0x3f167918, v32
	v_sub_f32_e32 v24, v49, v72
	v_mov_b32_e32 v27, v36
	v_fmac_f32_e32 v50, 0x3e9e377a, v26
	v_fmac_f32_e32 v41, 0x3e9e377a, v26
	;; [unrolled: 1-line block ×3, first 2 shown]
	v_sub_f32_e32 v26, v64, v68
	v_sub_f32_e32 v28, v33, v35
	;; [unrolled: 1-line block ×3, first 2 shown]
	v_fmac_f32_e32 v36, 0xbf737871, v24
	v_fmac_f32_e32 v27, 0x3f167918, v26
	v_add_f32_e32 v28, v28, v30
	v_fmac_f32_e32 v36, 0xbf167918, v26
	v_fmac_f32_e32 v27, 0x3e9e377a, v28
	;; [unrolled: 1-line block ×3, first 2 shown]
	v_add_f32_e32 v28, v33, v25
	v_fmac_f32_e32 v42, -0.5, v28
	v_mov_b32_e32 v31, v42
	v_fmac_f32_e32 v31, 0xbf737871, v26
	v_fmac_f32_e32 v42, 0x3f737871, v26
	;; [unrolled: 1-line block ×4, first 2 shown]
	v_add_f32_e32 v24, v45, v49
	v_add_f32_e32 v24, v24, v64
	;; [unrolled: 1-line block ×5, first 2 shown]
	v_sub_f32_e32 v28, v35, v33
	v_sub_f32_e32 v30, v29, v25
	v_fma_f32 v51, -0.5, v24, v45
	v_add_f32_e32 v28, v28, v30
	v_sub_f32_e32 v24, v33, v25
	v_mov_b32_e32 v33, v51
	v_fmac_f32_e32 v31, 0x3e9e377a, v28
	v_fmac_f32_e32 v42, 0x3e9e377a, v28
	;; [unrolled: 1-line block ×3, first 2 shown]
	v_sub_f32_e32 v25, v35, v29
	v_sub_f32_e32 v26, v49, v64
	;; [unrolled: 1-line block ×3, first 2 shown]
	v_fmac_f32_e32 v51, 0x3f737871, v24
	v_fmac_f32_e32 v33, 0xbf167918, v25
	v_add_f32_e32 v26, v26, v28
	v_fmac_f32_e32 v51, 0x3f167918, v25
	v_fmac_f32_e32 v33, 0x3e9e377a, v26
	;; [unrolled: 1-line block ×3, first 2 shown]
	v_add_f32_e32 v26, v49, v72
	v_fmac_f32_e32 v45, -0.5, v26
	v_mov_b32_e32 v29, v45
	v_fmac_f32_e32 v29, 0x3f737871, v25
	v_sub_f32_e32 v26, v64, v49
	v_sub_f32_e32 v28, v68, v72
	v_fmac_f32_e32 v29, 0xbf167918, v24
	v_add_f32_e32 v26, v26, v28
	v_fmac_f32_e32 v45, 0xbf737871, v25
	v_fmac_f32_e32 v29, 0x3e9e377a, v26
	v_fmac_f32_e32 v45, 0x3f167918, v24
	v_fmac_f32_e32 v45, 0x3e9e377a, v26
	v_mul_f32_e32 v49, 0x3f737871, v29
	v_mul_f32_e32 v25, 0x3e9e377a, v42
	;; [unrolled: 1-line block ×3, first 2 shown]
	v_add_f32_e32 v37, v37, v66
	v_mul_f32_e32 v35, 0x3f167918, v33
	v_fmac_f32_e32 v49, 0x3e9e377a, v31
	v_fma_f32 v63, v45, s14, -v25
	v_mul_f32_e32 v25, 0x3f4f1bbd, v36
	v_fmac_f32_e32 v65, 0x3f4f1bbd, v33
	v_mul_f32_e32 v66, 0xbf737871, v31
	v_mul_f32_e32 v31, 0x3e9e377a, v45
	;; [unrolled: 1-line block ×3, first 2 shown]
	v_add_f32_e32 v37, v37, v70
	v_fmac_f32_e32 v35, 0x3f4f1bbd, v27
	v_fma_f32 v64, v51, s15, -v25
	v_fmac_f32_e32 v66, 0x3e9e377a, v29
	v_fma_f32 v45, v42, s12, -v31
	v_fma_f32 v51, v36, s13, -v33
	v_add_f32_e32 v24, v46, v34
	v_add_f32_e32 v26, v38, v35
	;; [unrolled: 1-line block ×10, first 2 shown]
	v_sub_f32_e32 v34, v46, v34
	v_sub_f32_e32 v36, v38, v35
	;; [unrolled: 1-line block ×10, first 2 shown]
	s_and_saveexec_b64 s[12:13], s[2:3]
	s_cbranch_execz .LBB0_11
; %bb.10:
	v_add_u32_e32 v44, 0x800, v59
	ds_write2_b64 v59, v[24:25], v[26:27] offset1:66
	ds_write2_b64 v59, v[28:29], v[30:31] offset0:132 offset1:198
	ds_write2_b64 v44, v[32:33], v[34:35] offset0:8 offset1:74
	;; [unrolled: 1-line block ×3, first 2 shown]
	v_add_u32_e32 v44, 0x1000, v59
	ds_write2_b64 v44, v[40:41], v[42:43] offset0:16 offset1:82
.LBB0_11:
	s_or_b64 exec, exec, s[12:13]
	s_waitcnt lgkmcnt(0)
	s_barrier
	s_and_saveexec_b64 s[12:13], s[0:1]
	s_cbranch_execz .LBB0_13
; %bb.12:
	v_mov_b32_e32 v44, s11
	v_add_co_u32_e32 v50, vcc, s10, v59
	v_addc_co_u32_e32 v51, vcc, 0, v44, vcc
	v_add_co_u32_e32 v44, vcc, 0x14a0, v50
	v_addc_co_u32_e32 v45, vcc, 0, v51, vcc
	;; [unrolled: 2-line block ×3, first 2 shown]
	global_load_dwordx2 v[48:49], v[46:47], off offset:1184
	global_load_dwordx2 v[75:76], v[44:45], off offset:480
	;; [unrolled: 1-line block ×4, first 2 shown]
	s_movk_i32 s14, 0x2000
	global_load_dwordx2 v[81:82], v[44:45], off offset:1920
	global_load_dwordx2 v[83:84], v[44:45], off offset:2400
	;; [unrolled: 1-line block ×5, first 2 shown]
	v_add_co_u32_e32 v44, vcc, s14, v50
	v_addc_co_u32_e32 v45, vcc, 0, v51, vcc
	global_load_dwordx2 v[91:92], v[44:45], off offset:1408
	global_load_dwordx2 v[93:94], v[44:45], off offset:1888
	ds_read_b64 v[44:45], v59
	v_add_u32_e32 v96, 0x800, v59
	v_add_u32_e32 v97, 0x1000, v59
	s_waitcnt vmcnt(10) lgkmcnt(0)
	v_mul_f32_e32 v46, v45, v49
	v_mul_f32_e32 v47, v44, v49
	v_fma_f32 v46, v44, v48, -v46
	v_fmac_f32_e32 v47, v45, v48
	ds_write_b64 v59, v[46:47]
	ds_read2_b64 v[44:47], v59 offset0:60 offset1:120
	ds_read2_b64 v[48:51], v59 offset0:180 offset1:240
	;; [unrolled: 1-line block ×5, first 2 shown]
	s_waitcnt vmcnt(9) lgkmcnt(4)
	v_mul_f32_e32 v98, v45, v76
	v_mul_f32_e32 v95, v44, v76
	s_waitcnt vmcnt(8)
	v_mul_f32_e32 v99, v47, v78
	v_mul_f32_e32 v76, v46, v78
	s_waitcnt vmcnt(7) lgkmcnt(3)
	v_mul_f32_e32 v100, v49, v80
	v_mul_f32_e32 v78, v48, v80
	s_waitcnt vmcnt(6)
	v_mul_f32_e32 v101, v51, v82
	v_mul_f32_e32 v80, v50, v82
	;; [unrolled: 6-line block ×5, first 2 shown]
	v_fma_f32 v94, v44, v75, -v98
	v_fmac_f32_e32 v95, v45, v75
	v_fma_f32 v75, v46, v77, -v99
	v_fmac_f32_e32 v76, v47, v77
	v_fma_f32 v77, v48, v79, -v100
	v_fmac_f32_e32 v78, v49, v79
	v_fma_f32 v79, v50, v81, -v101
	v_fmac_f32_e32 v80, v51, v81
	v_fma_f32 v81, v63, v83, -v102
	v_fmac_f32_e32 v82, v64, v83
	v_fma_f32 v83, v65, v85, -v103
	v_fmac_f32_e32 v84, v66, v85
	v_fma_f32 v85, v67, v87, -v104
	v_fmac_f32_e32 v86, v68, v87
	v_fma_f32 v87, v69, v89, -v105
	v_fmac_f32_e32 v88, v70, v89
	v_fma_f32 v89, v71, v91, -v106
	v_fmac_f32_e32 v90, v72, v91
	v_fma_f32 v91, v73, v93, -v107
	v_fmac_f32_e32 v92, v74, v93
	ds_write2_b64 v59, v[94:95], v[75:76] offset0:60 offset1:120
	ds_write2_b64 v59, v[77:78], v[79:80] offset0:180 offset1:240
	ds_write2_b64 v96, v[81:82], v[83:84] offset0:44 offset1:104
	ds_write2_b64 v96, v[85:86], v[87:88] offset0:164 offset1:224
	ds_write2_b64 v97, v[89:90], v[91:92] offset0:28 offset1:88
.LBB0_13:
	s_or_b64 exec, exec, s[12:13]
	s_waitcnt lgkmcnt(0)
	s_barrier
	s_and_saveexec_b64 s[12:13], s[0:1]
	s_cbranch_execz .LBB0_15
; %bb.14:
	v_add_u32_e32 v32, 0x400, v59
	v_add_u32_e32 v36, 0x800, v59
	;; [unrolled: 1-line block ×3, first 2 shown]
	ds_read2_b64 v[24:27], v59 offset1:60
	ds_read2_b64 v[28:31], v59 offset0:120 offset1:180
	ds_read2_b64 v[32:35], v32 offset0:112 offset1:172
	;; [unrolled: 1-line block ×4, first 2 shown]
	ds_read_b64 v[53:54], v59 offset:4800
.LBB0_15:
	s_or_b64 exec, exec, s[12:13]
	s_waitcnt lgkmcnt(0)
	v_sub_f32_e32 v67, v27, v54
	v_add_f32_e32 v63, v53, v26
	v_add_f32_e32 v69, v54, v27
	s_mov_b32 s14, 0x3ed4b147
	v_mul_f32_e32 v71, 0xbf68dda4, v67
	v_sub_f32_e32 v72, v29, v43
	v_mul_f32_e32 v74, 0x3ed4b147, v69
	v_fma_f32 v44, v63, s14, -v71
	s_mov_b32 s16, 0xbf27a4f4
	v_add_f32_e32 v65, v42, v28
	v_add_f32_e32 v75, v43, v29
	v_mul_f32_e32 v79, 0xbf4178ce, v72
	v_sub_f32_e32 v64, v26, v53
	v_add_f32_e32 v44, v24, v44
	v_mov_b32_e32 v45, v74
	v_mul_f32_e32 v82, 0xbf27a4f4, v75
	v_fma_f32 v68, v65, s16, -v79
	v_fmac_f32_e32 v45, 0xbf68dda4, v64
	s_mov_b32 s15, 0xbe11bafb
	v_mul_f32_e32 v77, 0xbf7d64f0, v67
	v_sub_f32_e32 v66, v28, v42
	v_add_f32_e32 v44, v68, v44
	v_mov_b32_e32 v68, v82
	v_add_f32_e32 v45, v25, v45
	v_mul_f32_e32 v81, 0xbe11bafb, v69
	v_fma_f32 v46, v63, s15, -v77
	s_mov_b32 s17, 0xbf75a155
	v_fmac_f32_e32 v68, 0xbf4178ce, v66
	v_mul_f32_e32 v87, 0x3e903f40, v72
	v_add_f32_e32 v46, v24, v46
	v_mov_b32_e32 v47, v81
	v_add_f32_e32 v45, v68, v45
	v_mul_f32_e32 v90, 0xbf75a155, v75
	v_fma_f32 v68, v65, s17, -v87
	v_fmac_f32_e32 v47, 0xbf7d64f0, v64
	v_mul_f32_e32 v85, 0xbf4178ce, v67
	v_add_f32_e32 v46, v68, v46
	v_mov_b32_e32 v68, v90
	v_add_f32_e32 v47, v25, v47
	v_mul_f32_e32 v89, 0xbf27a4f4, v69
	v_fma_f32 v48, v63, s16, -v85
	;; [unrolled: 7-line block ×4, first 2 shown]
	v_fmac_f32_e32 v68, 0x3f7d64f0, v66
	s_mov_b32 s18, 0x3f575c64
	v_mul_f32_e32 v105, 0x3f0a6770, v72
	v_add_f32_e32 v50, v24, v50
	v_mov_b32_e32 v51, v102
	v_add_f32_e32 v49, v68, v49
	v_mul_f32_e32 v110, 0x3f575c64, v75
	v_fma_f32 v68, v65, s18, -v105
	v_fmac_f32_e32 v51, 0xbe903f40, v64
	v_add_f32_e32 v50, v68, v50
	v_mov_b32_e32 v68, v110
	v_add_f32_e32 v51, v25, v51
	v_fmac_f32_e32 v68, 0x3f0a6770, v66
	v_sub_f32_e32 v78, v31, v41
	v_add_f32_e32 v51, v68, v51
	v_add_f32_e32 v68, v40, v30
	;; [unrolled: 1-line block ×3, first 2 shown]
	v_mul_f32_e32 v88, 0x3e903f40, v78
	v_mul_f32_e32 v91, 0xbf75a155, v83
	v_fma_f32 v73, v68, s17, -v88
	v_sub_f32_e32 v70, v30, v40
	v_add_f32_e32 v44, v73, v44
	v_mov_b32_e32 v73, v91
	v_fmac_f32_e32 v73, 0x3e903f40, v70
	v_mul_f32_e32 v95, 0x3f68dda4, v78
	v_add_f32_e32 v45, v73, v45
	v_mul_f32_e32 v99, 0x3ed4b147, v83
	v_fma_f32 v73, v68, s14, -v95
	v_add_f32_e32 v46, v73, v46
	v_mov_b32_e32 v73, v99
	v_fmac_f32_e32 v73, 0x3f68dda4, v70
	v_mul_f32_e32 v103, 0xbf0a6770, v78
	v_add_f32_e32 v47, v73, v47
	v_mul_f32_e32 v107, 0x3f575c64, v83
	v_fma_f32 v73, v68, s18, -v103
	;; [unrolled: 7-line block ×3, first 2 shown]
	v_add_f32_e32 v50, v73, v50
	v_mov_b32_e32 v73, v116
	v_fmac_f32_e32 v73, 0xbf4178ce, v70
	v_sub_f32_e32 v86, v33, v39
	v_add_f32_e32 v51, v73, v51
	v_add_f32_e32 v73, v38, v32
	;; [unrolled: 1-line block ×3, first 2 shown]
	v_mul_f32_e32 v97, 0x3f7d64f0, v86
	v_mul_f32_e32 v101, 0xbe11bafb, v92
	v_fma_f32 v80, v73, s15, -v97
	v_sub_f32_e32 v76, v32, v38
	v_add_f32_e32 v44, v80, v44
	v_mov_b32_e32 v80, v101
	v_fmac_f32_e32 v80, 0x3f7d64f0, v76
	v_mul_f32_e32 v104, 0xbf0a6770, v86
	v_add_f32_e32 v45, v80, v45
	v_mul_f32_e32 v108, 0x3f575c64, v92
	v_fma_f32 v80, v73, s18, -v104
	v_add_f32_e32 v46, v80, v46
	v_mov_b32_e32 v80, v108
	v_fmac_f32_e32 v80, 0xbf0a6770, v76
	v_mul_f32_e32 v111, 0xbe903f40, v86
	v_add_f32_e32 v47, v80, v47
	v_mul_f32_e32 v114, 0xbf75a155, v92
	v_fma_f32 v80, v73, s17, -v111
	;; [unrolled: 7-line block ×3, first 2 shown]
	v_add_f32_e32 v123, v48, v50
	v_mov_b32_e32 v48, v120
	v_sub_f32_e32 v93, v35, v37
	v_fmac_f32_e32 v48, 0x3f68dda4, v76
	v_add_f32_e32 v80, v36, v34
	v_add_f32_e32 v100, v37, v35
	v_mul_f32_e32 v106, 0x3f0a6770, v93
	v_add_f32_e32 v124, v48, v51
	v_mul_f32_e32 v109, 0x3f575c64, v100
	v_fma_f32 v48, v80, s18, -v106
	v_sub_f32_e32 v84, v34, v36
	v_add_f32_e32 v50, v48, v44
	v_mov_b32_e32 v44, v109
	v_fmac_f32_e32 v44, 0x3f0a6770, v84
	v_mul_f32_e32 v113, 0xbf4178ce, v93
	v_add_f32_e32 v51, v44, v45
	v_mul_f32_e32 v115, 0xbf27a4f4, v100
	v_fma_f32 v44, v80, s16, -v113
	v_add_f32_e32 v48, v44, v46
	v_mov_b32_e32 v44, v115
	v_fmac_f32_e32 v44, 0xbf4178ce, v84
	v_mul_f32_e32 v118, 0x3f68dda4, v93
	v_add_f32_e32 v49, v44, v47
	v_mul_f32_e32 v119, 0x3ed4b147, v100
	v_fma_f32 v44, v80, s14, -v118
	v_add_f32_e32 v46, v44, v121
	v_mov_b32_e32 v44, v119
	v_fmac_f32_e32 v44, 0x3f68dda4, v84
	v_add_f32_e32 v47, v44, v122
	v_mul_f32_e32 v122, 0xbe11bafb, v100
	v_mul_f32_e32 v121, 0xbf7d64f0, v93
	v_mov_b32_e32 v45, v122
	v_fma_f32 v44, v80, s15, -v121
	v_fmac_f32_e32 v45, 0xbf7d64f0, v84
	v_add_f32_e32 v44, v44, v123
	v_add_f32_e32 v45, v45, v124
	s_barrier
	s_and_saveexec_b64 s[12:13], s[0:1]
	s_cbranch_execz .LBB0_17
; %bb.16:
	v_mul_f32_e32 v130, 0xbe903f40, v64
	v_mul_f32_e32 v138, 0x3f0a6770, v66
	v_sub_f32_e32 v102, v102, v130
	v_mul_f32_e32 v146, 0xbf4178ce, v70
	v_sub_f32_e32 v110, v110, v138
	v_add_f32_e32 v102, v25, v102
	v_mul_f32_e32 v129, 0xbf75a155, v63
	v_add_f32_e32 v102, v110, v102
	v_sub_f32_e32 v116, v116, v146
	v_mul_f32_e32 v137, 0x3f575c64, v65
	v_add_f32_e32 v102, v116, v102
	v_mul_f32_e32 v116, 0x3f68dda4, v76
	v_add_f32_e32 v96, v129, v96
	v_mul_f32_e32 v145, 0xbf27a4f4, v68
	v_sub_f32_e32 v116, v120, v116
	v_add_f32_e32 v105, v137, v105
	v_add_f32_e32 v96, v24, v96
	v_mul_f32_e32 v120, 0x3ed4b147, v73
	v_add_f32_e32 v102, v116, v102
	v_mul_f32_e32 v116, 0xbf7d64f0, v84
	v_add_f32_e32 v96, v105, v96
	v_add_f32_e32 v112, v145, v112
	v_mul_f32_e32 v128, 0xbf4178ce, v64
	v_sub_f32_e32 v116, v122, v116
	v_add_f32_e32 v96, v112, v96
	v_add_f32_e32 v120, v120, v117
	v_mul_f32_e32 v149, 0xbe11bafb, v80
	v_mul_f32_e32 v136, 0x3f7d64f0, v66
	v_add_f32_e32 v117, v116, v102
	v_add_f32_e32 v96, v120, v96
	;; [unrolled: 1-line block ×3, first 2 shown]
	v_sub_f32_e32 v89, v89, v128
	v_mul_f32_e32 v144, 0xbf0a6770, v70
	v_add_f32_e32 v116, v102, v96
	v_add_f32_e32 v89, v25, v89
	v_sub_f32_e32 v96, v98, v136
	v_mul_f32_e32 v146, 0xbe903f40, v76
	v_add_f32_e32 v89, v96, v89
	v_sub_f32_e32 v96, v107, v144
	v_mul_f32_e32 v127, 0xbf27a4f4, v63
	v_mul_f32_e32 v112, 0x3f68dda4, v84
	v_add_f32_e32 v89, v96, v89
	v_sub_f32_e32 v96, v114, v146
	v_mul_f32_e32 v135, 0xbe11bafb, v65
	v_add_f32_e32 v89, v96, v89
	v_sub_f32_e32 v96, v119, v112
	v_add_f32_e32 v85, v127, v85
	v_mul_f32_e32 v143, 0x3f575c64, v68
	v_add_f32_e32 v112, v96, v89
	v_add_f32_e32 v85, v24, v85
	;; [unrolled: 1-line block ×3, first 2 shown]
	v_mul_f32_e32 v110, 0xbf75a155, v73
	v_add_f32_e32 v85, v89, v85
	v_add_f32_e32 v89, v143, v103
	v_mul_f32_e32 v126, 0xbf7d64f0, v64
	v_mul_f32_e32 v145, 0x3ed4b147, v80
	v_add_f32_e32 v85, v89, v85
	v_add_f32_e32 v89, v110, v111
	v_mul_f32_e32 v134, 0x3e903f40, v66
	v_add_f32_e32 v85, v89, v85
	v_add_f32_e32 v89, v145, v118
	v_sub_f32_e32 v81, v81, v126
	v_mul_f32_e32 v142, 0x3f68dda4, v70
	v_add_f32_e32 v111, v89, v85
	v_add_f32_e32 v81, v25, v81
	v_sub_f32_e32 v85, v90, v134
	v_mul_f32_e32 v138, 0xbf0a6770, v76
	v_add_f32_e32 v81, v85, v81
	v_sub_f32_e32 v85, v99, v142
	v_mul_f32_e32 v125, 0xbe11bafb, v63
	v_mul_f32_e32 v105, 0xbf4178ce, v84
	v_add_f32_e32 v81, v85, v81
	v_sub_f32_e32 v85, v108, v138
	v_mul_f32_e32 v133, 0xbf75a155, v65
	v_add_f32_e32 v81, v85, v81
	v_sub_f32_e32 v85, v115, v105
	v_add_f32_e32 v77, v125, v77
	v_mul_f32_e32 v141, 0x3ed4b147, v68
	v_add_f32_e32 v90, v85, v81
	v_add_f32_e32 v77, v24, v77
	;; [unrolled: 1-line block ×3, first 2 shown]
	v_mul_f32_e32 v130, 0x3f575c64, v73
	v_add_f32_e32 v77, v81, v77
	v_add_f32_e32 v81, v141, v95
	v_mul_f32_e32 v124, 0xbf68dda4, v64
	v_mul_f32_e32 v137, 0xbf27a4f4, v80
	v_add_f32_e32 v77, v81, v77
	v_add_f32_e32 v81, v130, v104
	v_mul_f32_e32 v132, 0xbf4178ce, v66
	v_add_f32_e32 v77, v81, v77
	v_add_f32_e32 v81, v137, v113
	v_sub_f32_e32 v74, v74, v124
	v_mul_f32_e32 v140, 0x3e903f40, v70
	v_add_f32_e32 v89, v81, v77
	v_add_f32_e32 v74, v25, v74
	v_sub_f32_e32 v77, v82, v132
	v_mul_f32_e32 v148, 0x3f7d64f0, v76
	v_add_f32_e32 v74, v77, v74
	v_sub_f32_e32 v77, v91, v140
	v_mul_f32_e32 v123, 0x3ed4b147, v63
	v_mul_f32_e32 v129, 0x3f0a6770, v84
	v_add_f32_e32 v74, v77, v74
	v_sub_f32_e32 v77, v101, v148
	v_mul_f32_e32 v131, 0xbf27a4f4, v65
	v_add_f32_e32 v74, v77, v74
	v_sub_f32_e32 v77, v109, v129
	v_add_f32_e32 v71, v123, v71
	v_mul_f32_e32 v139, 0xbf75a155, v68
	v_add_f32_e32 v82, v77, v74
	v_add_f32_e32 v71, v24, v71
	v_add_f32_e32 v74, v131, v79
	v_mul_f32_e32 v147, 0xbe11bafb, v73
	v_add_f32_e32 v71, v74, v71
	v_add_f32_e32 v74, v139, v88
	v_mul_f32_e32 v122, 0x3f575c64, v80
	v_add_f32_e32 v71, v74, v71
	v_add_f32_e32 v74, v147, v97
	;; [unrolled: 1-line block ×4, first 2 shown]
	v_mul_f32_e32 v69, 0x3f575c64, v69
	v_add_f32_e32 v81, v74, v71
	v_mov_b32_e32 v71, v69
	v_mul_f32_e32 v77, 0x3ed4b147, v75
	v_fmac_f32_e32 v71, 0x3f0a6770, v64
	v_mov_b32_e32 v74, v77
	v_add_f32_e32 v71, v25, v71
	v_fmac_f32_e32 v74, 0x3f68dda4, v66
	v_mul_f32_e32 v79, 0xbe11bafb, v83
	v_add_f32_e32 v71, v74, v71
	v_mov_b32_e32 v74, v79
	v_fmac_f32_e32 v74, 0x3f7d64f0, v70
	v_mul_f32_e32 v83, 0xbf27a4f4, v92
	v_add_f32_e32 v71, v74, v71
	v_mov_b32_e32 v74, v83
	;; [unrolled: 4-line block ×4, first 2 shown]
	v_mul_f32_e32 v72, 0xbf68dda4, v72
	v_add_f32_e32 v27, v27, v25
	v_add_f32_e32 v26, v26, v24
	v_fmac_f32_e32 v71, 0x3f575c64, v63
	v_mov_b32_e32 v74, v72
	v_add_f32_e32 v27, v29, v27
	v_add_f32_e32 v26, v28, v26
	;; [unrolled: 1-line block ×3, first 2 shown]
	v_fmac_f32_e32 v74, 0x3ed4b147, v65
	v_mul_f32_e32 v78, 0xbf7d64f0, v78
	v_add_f32_e32 v27, v31, v27
	v_add_f32_e32 v26, v30, v26
	;; [unrolled: 1-line block ×3, first 2 shown]
	v_mov_b32_e32 v74, v78
	v_add_f32_e32 v27, v33, v27
	v_add_f32_e32 v26, v32, v26
	v_fmac_f32_e32 v74, 0xbe11bafb, v68
	v_mul_f32_e32 v86, 0xbf4178ce, v86
	v_add_f32_e32 v27, v35, v27
	v_add_f32_e32 v26, v34, v26
	v_fma_f32 v28, v63, s18, -v67
	v_add_f32_e32 v71, v74, v71
	v_mov_b32_e32 v74, v86
	v_add_f32_e32 v27, v37, v27
	v_add_f32_e32 v26, v36, v26
	v_fmac_f32_e32 v69, 0xbf0a6770, v64
	v_add_f32_e32 v24, v24, v28
	v_fma_f32 v28, v65, s14, -v72
	v_fmac_f32_e32 v74, 0xbf27a4f4, v73
	v_mul_f32_e32 v87, 0xbe903f40, v93
	v_add_f32_e32 v27, v39, v27
	v_add_f32_e32 v26, v38, v26
	;; [unrolled: 1-line block ×3, first 2 shown]
	v_fmac_f32_e32 v77, 0xbf68dda4, v66
	v_add_f32_e32 v24, v28, v24
	v_fma_f32 v28, v68, s15, -v78
	v_add_f32_e32 v71, v74, v71
	v_mov_b32_e32 v74, v87
	v_add_f32_e32 v27, v41, v27
	v_add_f32_e32 v26, v40, v26
	v_add_f32_e32 v25, v77, v25
	v_fmac_f32_e32 v79, 0xbf7d64f0, v70
	v_add_f32_e32 v24, v28, v24
	v_fma_f32 v28, v73, s16, -v86
	v_fmac_f32_e32 v74, 0xbf75a155, v80
	v_add_f32_e32 v27, v43, v27
	v_add_f32_e32 v26, v42, v26
	;; [unrolled: 1-line block ×3, first 2 shown]
	v_fmac_f32_e32 v83, 0xbf4178ce, v76
	v_add_f32_e32 v24, v28, v24
	v_fma_f32 v28, v80, s17, -v87
	v_add_f32_e32 v74, v74, v71
	v_add_f32_e32 v27, v54, v27
	;; [unrolled: 1-line block ×4, first 2 shown]
	v_fmac_f32_e32 v85, 0xbe903f40, v84
	v_add_f32_e32 v24, v28, v24
	v_lshlrev_b32_e32 v28, 3, v61
	v_add_f32_e32 v25, v85, v25
	ds_write2_b64 v28, v[26:27], v[74:75] offset1:1
	ds_write2_b64 v28, v[81:82], v[89:90] offset0:2 offset1:3
	ds_write2_b64 v28, v[111:112], v[116:117] offset0:4 offset1:5
	;; [unrolled: 1-line block ×4, first 2 shown]
	ds_write_b64 v28, v[24:25] offset:80
.LBB0_17:
	s_or_b64 exec, exec, s[12:13]
	s_waitcnt lgkmcnt(0)
	s_barrier
	ds_read2_b64 v[24:27], v59 offset1:110
	v_add_u32_e32 v28, 0x400, v59
	ds_read2_b64 v[28:31], v28 offset0:92 offset1:202
	v_add_u32_e32 v32, 0xc00, v59
	ds_read2_b64 v[32:35], v32 offset0:56 offset1:166
	s_waitcnt lgkmcnt(2)
	v_mul_f32_e32 v36, v5, v27
	v_mul_f32_e32 v5, v5, v26
	v_fmac_f32_e32 v36, v4, v26
	v_fma_f32 v5, v4, v27, -v5
	s_waitcnt lgkmcnt(1)
	v_mul_f32_e32 v4, v7, v29
	v_mul_f32_e32 v7, v7, v28
	v_fmac_f32_e32 v4, v6, v28
	v_fma_f32 v6, v6, v29, -v7
	v_mul_f32_e32 v7, v1, v31
	v_mul_f32_e32 v1, v1, v30
	v_fmac_f32_e32 v7, v0, v30
	v_fma_f32 v0, v0, v31, -v1
	s_waitcnt lgkmcnt(0)
	v_mul_f32_e32 v1, v3, v33
	v_fmac_f32_e32 v1, v2, v32
	v_mul_f32_e32 v3, v3, v32
	v_add_f32_e32 v28, v4, v1
	v_fma_f32 v2, v2, v33, -v3
	v_fma_f32 v28, -0.5, v28, v24
	v_add_f32_e32 v27, v24, v4
	v_sub_f32_e32 v24, v6, v2
	v_mov_b32_e32 v29, v28
	v_fmac_f32_e32 v29, 0xbf5db3d7, v24
	v_fmac_f32_e32 v28, 0x3f5db3d7, v24
	v_add_f32_e32 v24, v25, v6
	v_add_f32_e32 v30, v24, v2
	;; [unrolled: 1-line block ×3, first 2 shown]
	v_fma_f32 v31, -0.5, v2, v25
	v_mul_f32_e32 v3, v56, v35
	v_add_f32_e32 v27, v27, v1
	v_sub_f32_e32 v1, v4, v1
	v_mov_b32_e32 v25, v31
	v_fmac_f32_e32 v3, v55, v34
	v_fmac_f32_e32 v25, 0x3f5db3d7, v1
	;; [unrolled: 1-line block ×3, first 2 shown]
	v_add_f32_e32 v1, v36, v7
	v_mul_f32_e32 v26, v56, v34
	v_add_f32_e32 v6, v1, v3
	v_add_f32_e32 v1, v7, v3
	v_fma_f32 v26, v55, v35, -v26
	v_fmac_f32_e32 v36, -0.5, v1
	v_sub_f32_e32 v1, v0, v26
	v_mov_b32_e32 v24, v36
	v_fmac_f32_e32 v24, 0xbf5db3d7, v1
	v_fmac_f32_e32 v36, 0x3f5db3d7, v1
	v_add_f32_e32 v1, v5, v0
	v_add_f32_e32 v0, v0, v26
	v_fmac_f32_e32 v5, -0.5, v0
	v_sub_f32_e32 v0, v7, v3
	v_mov_b32_e32 v3, v5
	v_fmac_f32_e32 v3, 0x3f5db3d7, v0
	v_fmac_f32_e32 v5, 0xbf5db3d7, v0
	v_add_f32_e32 v32, v1, v26
	v_mul_f32_e32 v7, 0xbf5db3d7, v3
	v_mul_f32_e32 v26, 0xbf5db3d7, v5
	v_mul_f32_e32 v33, 0.5, v3
	v_mul_f32_e32 v34, -0.5, v5
	v_fmac_f32_e32 v7, 0.5, v24
	v_fmac_f32_e32 v26, -0.5, v36
	v_fmac_f32_e32 v33, 0x3f5db3d7, v24
	v_fmac_f32_e32 v34, 0x3f5db3d7, v36
	v_add_f32_e32 v0, v27, v6
	v_add_f32_e32 v2, v29, v7
	;; [unrolled: 1-line block ×6, first 2 shown]
	v_sub_f32_e32 v6, v27, v6
	v_sub_f32_e32 v24, v29, v7
	;; [unrolled: 1-line block ×6, first 2 shown]
	s_barrier
	ds_write2_b64 v62, v[0:1], v[2:3] offset1:11
	ds_write2_b64 v62, v[4:5], v[6:7] offset0:22 offset1:33
	ds_write2_b64 v62, v[24:25], v[26:27] offset0:44 offset1:55
	s_waitcnt lgkmcnt(0)
	s_barrier
	s_and_saveexec_b64 s[12:13], s[2:3]
	s_cbranch_execz .LBB0_19
; %bb.18:
	v_add_u32_e32 v28, 0x800, v59
	ds_read2_b64 v[0:3], v59 offset1:66
	ds_read2_b64 v[4:7], v59 offset0:132 offset1:198
	ds_read2_b64 v[24:27], v28 offset0:8 offset1:74
	;; [unrolled: 1-line block ×3, first 2 shown]
	v_add_u32_e32 v28, 0x1000, v59
	ds_read2_b64 v[48:51], v28 offset0:16 offset1:82
.LBB0_19:
	s_or_b64 exec, exec, s[12:13]
	s_and_saveexec_b64 s[12:13], s[2:3]
	s_cbranch_execz .LBB0_21
; %bb.20:
	s_waitcnt lgkmcnt(2)
	v_mul_f32_e32 v29, v23, v24
	s_waitcnt lgkmcnt(1)
	v_mul_f32_e32 v32, v19, v44
	v_mul_f32_e32 v23, v23, v25
	;; [unrolled: 1-line block ×3, first 2 shown]
	v_fma_f32 v29, v22, v25, -v29
	v_fma_f32 v32, v18, v45, -v32
	v_fmac_f32_e32 v23, v22, v24
	v_fmac_f32_e32 v19, v18, v44
	v_mul_f32_e32 v18, v21, v7
	v_mul_f32_e32 v22, v17, v27
	s_waitcnt lgkmcnt(0)
	v_mul_f32_e32 v24, v58, v51
	v_mul_f32_e32 v25, v13, v47
	;; [unrolled: 1-line block ×4, first 2 shown]
	v_fmac_f32_e32 v18, v20, v6
	v_fmac_f32_e32 v22, v16, v26
	;; [unrolled: 1-line block ×5, first 2 shown]
	v_sub_f32_e32 v4, v18, v22
	v_sub_f32_e32 v34, v24, v25
	v_mul_f32_e32 v35, v9, v3
	v_add_f32_e32 v34, v34, v4
	v_fmac_f32_e32 v35, v8, v2
	v_add_f32_e32 v4, v25, v22
	v_fma_f32 v36, -0.5, v4, v35
	v_mul_f32_e32 v4, v21, v6
	v_fma_f32 v7, v20, v7, -v4
	v_mul_f32_e32 v4, v58, v50
	v_fma_f32 v20, v57, v51, -v4
	;; [unrolled: 2-line block ×3, first 2 shown]
	v_mul_f32_e32 v4, v13, v46
	v_mul_f32_e32 v31, v15, v48
	v_fma_f32 v12, v12, v47, -v4
	v_fma_f32 v28, v10, v5, -v28
	;; [unrolled: 1-line block ×3, first 2 shown]
	v_sub_f32_e32 v4, v7, v16
	v_sub_f32_e32 v6, v20, v12
	v_mul_f32_e32 v2, v9, v2
	v_sub_f32_e32 v30, v28, v29
	v_sub_f32_e32 v33, v31, v32
	v_add_f32_e32 v17, v6, v4
	v_fma_f32 v3, v8, v3, -v2
	v_add_f32_e32 v2, v12, v16
	v_sub_f32_e32 v4, v29, v28
	v_sub_f32_e32 v6, v32, v31
	v_add_f32_e32 v30, v33, v30
	v_add_f32_e32 v33, v32, v29
	v_fma_f32 v9, -0.5, v2, v3
	v_add_f32_e32 v6, v6, v4
	v_add_f32_e32 v4, v31, v28
	v_fma_f32 v33, -0.5, v33, v1
	v_sub_f32_e32 v8, v18, v24
	v_mov_b32_e32 v26, v9
	v_fma_f32 v39, -0.5, v4, v1
	v_add_f32_e32 v1, v28, v1
	v_fmac_f32_e32 v26, 0xbf737871, v8
	v_sub_f32_e32 v27, v22, v25
	v_fmac_f32_e32 v9, 0x3f737871, v8
	v_add_f32_e32 v1, v29, v1
	v_fmac_f32_e32 v26, 0xbf167918, v27
	v_sub_f32_e32 v4, v22, v18
	v_sub_f32_e32 v41, v25, v24
	v_fmac_f32_e32 v9, 0x3f167918, v27
	v_add_f32_e32 v1, v32, v1
	v_fmac_f32_e32 v26, 0x3e9e377a, v17
	v_add_f32_e32 v41, v41, v4
	v_add_f32_e32 v4, v24, v18
	v_fmac_f32_e32 v9, 0x3e9e377a, v17
	v_add_f32_e32 v17, v31, v1
	v_add_f32_e32 v1, v7, v3
	v_mul_f32_e32 v15, v15, v49
	v_fma_f32 v42, -0.5, v4, v35
	v_sub_f32_e32 v4, v16, v7
	v_sub_f32_e32 v44, v12, v20
	v_add_f32_e32 v1, v16, v1
	v_fmac_f32_e32 v15, v14, v48
	v_sub_f32_e32 v10, v23, v19
	v_mov_b32_e32 v40, v39
	v_add_f32_e32 v44, v44, v4
	v_add_f32_e32 v4, v20, v7
	;; [unrolled: 1-line block ×3, first 2 shown]
	v_sub_f32_e32 v5, v11, v15
	v_mov_b32_e32 v14, v33
	v_sub_f32_e32 v21, v7, v20
	v_sub_f32_e32 v13, v16, v12
	v_fmac_f32_e32 v40, 0x3f737871, v10
	v_mov_b32_e32 v43, v42
	v_fma_f32 v45, -0.5, v4, v3
	v_fmac_f32_e32 v39, 0xbf737871, v10
	v_add_f32_e32 v20, v20, v1
	v_sub_f32_e32 v1, v11, v23
	v_sub_f32_e32 v3, v15, v19
	v_fmac_f32_e32 v14, 0xbf737871, v5
	v_mov_b32_e32 v37, v36
	v_fmac_f32_e32 v40, 0xbf167918, v5
	v_fmac_f32_e32 v43, 0xbf737871, v13
	;; [unrolled: 1-line block ×5, first 2 shown]
	v_add_f32_e32 v7, v3, v1
	v_add_f32_e32 v1, v19, v23
	v_sub_f32_e32 v3, v23, v11
	v_sub_f32_e32 v5, v19, v15
	v_fmac_f32_e32 v37, 0x3f737871, v21
	v_fmac_f32_e32 v43, 0x3f167918, v21
	v_mov_b32_e32 v46, v45
	v_fmac_f32_e32 v42, 0xbf167918, v21
	v_fmac_f32_e32 v36, 0xbf737871, v21
	v_fma_f32 v21, -0.5, v1, v0
	v_add_f32_e32 v5, v5, v3
	v_add_f32_e32 v3, v15, v11
	v_fmac_f32_e32 v37, 0x3f167918, v13
	v_fmac_f32_e32 v46, 0x3f737871, v27
	;; [unrolled: 1-line block ×4, first 2 shown]
	v_mul_f32_e32 v13, 0x3f4f1bbd, v9
	v_sub_f32_e32 v12, v28, v31
	v_mov_b32_e32 v27, v21
	v_sub_f32_e32 v16, v29, v32
	v_fma_f32 v28, -0.5, v3, v0
	v_mul_f32_e32 v32, 0xbf167918, v9
	v_add_f32_e32 v0, v11, v0
	v_add_f32_e32 v9, v18, v35
	v_fmac_f32_e32 v46, 0xbf167918, v8
	v_fmac_f32_e32 v45, 0x3f167918, v8
	v_fmac_f32_e32 v27, 0x3f737871, v12
	v_mov_b32_e32 v29, v28
	v_fmac_f32_e32 v21, 0xbf737871, v12
	v_add_f32_e32 v0, v23, v0
	v_add_f32_e32 v9, v22, v9
	v_fmac_f32_e32 v14, 0xbf167918, v10
	v_fmac_f32_e32 v37, 0x3e9e377a, v34
	v_mul_f32_e32 v38, 0xbf4f1bbd, v26
	v_fmac_f32_e32 v46, 0x3e9e377a, v44
	v_fmac_f32_e32 v45, 0x3e9e377a, v44
	;; [unrolled: 1-line block ×5, first 2 shown]
	v_mul_f32_e32 v26, 0xbf167918, v26
	v_fmac_f32_e32 v29, 0xbf737871, v16
	v_fmac_f32_e32 v28, 0x3f737871, v16
	;; [unrolled: 1-line block ×3, first 2 shown]
	v_add_f32_e32 v0, v19, v0
	v_add_f32_e32 v9, v25, v9
	v_fmac_f32_e32 v14, 0x3e9e377a, v30
	v_fmac_f32_e32 v38, 0x3f167918, v37
	;; [unrolled: 1-line block ×3, first 2 shown]
	v_mul_f32_e32 v47, 0xbe9e377a, v46
	v_fmac_f32_e32 v42, 0x3e9e377a, v41
	v_mul_f32_e32 v41, 0x3e9e377a, v45
	v_fmac_f32_e32 v33, 0x3e9e377a, v30
	v_fmac_f32_e32 v13, 0x3f167918, v36
	;; [unrolled: 1-line block ×5, first 2 shown]
	v_mul_f32_e32 v30, 0xbf737871, v46
	v_fmac_f32_e32 v28, 0xbf167918, v12
	v_mul_f32_e32 v31, 0xbf737871, v45
	v_fmac_f32_e32 v21, 0x3e9e377a, v7
	v_fmac_f32_e32 v32, 0x3f4f1bbd, v36
	v_add_f32_e32 v0, v15, v0
	v_add_f32_e32 v19, v24, v9
	v_fmac_f32_e32 v40, 0x3e9e377a, v6
	v_fmac_f32_e32 v47, 0x3f737871, v43
	;; [unrolled: 1-line block ×4, first 2 shown]
	v_sub_f32_e32 v10, v17, v20
	v_fmac_f32_e32 v29, 0x3e9e377a, v5
	v_fmac_f32_e32 v30, 0xbe9e377a, v43
	;; [unrolled: 1-line block ×4, first 2 shown]
	v_sub_f32_e32 v9, v0, v19
	v_add_f32_e32 v12, v14, v38
	v_add_f32_e32 v18, v33, v13
	;; [unrolled: 1-line block ×6, first 2 shown]
	v_add_u32_e32 v0, 0x800, v59
	v_sub_f32_e32 v2, v14, v38
	v_sub_f32_e32 v4, v40, v47
	;; [unrolled: 1-line block ×8, first 2 shown]
	v_add_f32_e32 v14, v40, v47
	v_add_f32_e32 v16, v39, v41
	;; [unrolled: 1-line block ×4, first 2 shown]
	ds_write2_b64 v59, v[19:20], v[17:18] offset1:66
	ds_write2_b64 v59, v[15:16], v[13:14] offset0:132 offset1:198
	ds_write2_b64 v0, v[11:12], v[9:10] offset0:8 offset1:74
	;; [unrolled: 1-line block ×3, first 2 shown]
	v_add_u32_e32 v0, 0x1000, v59
	ds_write2_b64 v0, v[3:4], v[1:2] offset0:16 offset1:82
.LBB0_21:
	s_or_b64 exec, exec, s[12:13]
	s_waitcnt lgkmcnt(0)
	s_barrier
	s_and_b64 exec, exec, s[0:1]
	s_cbranch_execz .LBB0_23
; %bb.22:
	global_load_dwordx2 v[8:9], v59, s[10:11]
	global_load_dwordx2 v[10:11], v59, s[10:11] offset:480
	global_load_dwordx2 v[12:13], v59, s[10:11] offset:960
	;; [unrolled: 1-line block ×4, first 2 shown]
	ds_read_b64 v[18:19], v59
	ds_read2_b64 v[0:3], v59 offset0:60 offset1:120
	ds_read2_b64 v[4:7], v59 offset0:180 offset1:240
	global_load_dwordx2 v[24:25], v59, s[10:11] offset:2400
	global_load_dwordx2 v[26:27], v59, s[10:11] offset:2880
	;; [unrolled: 1-line block ×4, first 2 shown]
	v_mad_u64_u32 v[20:21], s[0:1], s6, v52, 0
	v_mad_u64_u32 v[22:23], s[2:3], s4, v60, 0
	v_mov_b32_e32 v32, s11
	s_mul_i32 s3, s5, 0x1e0
	s_mul_hi_u32 s6, s4, 0x1e0
	v_add_co_u32_e32 v36, vcc, s10, v59
	v_addc_co_u32_e32 v37, vcc, 0, v32, vcc
	s_add_i32 s3, s6, s3
	v_mad_u64_u32 v[32:33], s[6:7], s7, v52, v[21:22]
	s_mul_i32 s2, s4, 0x1e0
	v_mov_b32_e32 v35, s9
	v_mov_b32_e32 v21, v32
	v_lshlrev_b64 v[20:21], 3, v[20:21]
	v_mov_b32_e32 v38, s3
	v_add_co_u32_e32 v20, vcc, s8, v20
	v_addc_co_u32_e32 v21, vcc, v35, v21, vcc
	s_mov_b32 s0, 0x8d3018d3
	s_mov_b32 s1, 0x3f58d301
	s_waitcnt vmcnt(7) lgkmcnt(1)
	v_mul_f32_e32 v35, v1, v11
	v_mul_f32_e32 v11, v0, v11
	s_waitcnt vmcnt(5) lgkmcnt(0)
	v_mul_f32_e32 v39, v5, v15
	v_mul_f32_e32 v15, v4, v15
	s_waitcnt vmcnt(3)
	v_mad_u64_u32 v[33:34], s[4:5], s5, v60, v[23:24]
	v_mov_b32_e32 v34, s3
	v_fmac_f32_e32 v35, v0, v10
	v_mov_b32_e32 v23, v33
	v_lshlrev_b64 v[22:23], 3, v[22:23]
	v_fmac_f32_e32 v39, v4, v14
	v_add_co_u32_e32 v20, vcc, v20, v22
	v_addc_co_u32_e32 v21, vcc, v21, v23, vcc
	v_add_co_u32_e32 v22, vcc, s2, v20
	v_addc_co_u32_e32 v23, vcc, v21, v34, vcc
	v_add_co_u32_e32 v32, vcc, s2, v22
	v_mul_f32_e32 v34, v19, v9
	v_mul_f32_e32 v9, v18, v9
	v_addc_co_u32_e32 v33, vcc, v23, v38, vcc
	v_mul_f32_e32 v38, v3, v13
	v_mul_f32_e32 v13, v2, v13
	v_fmac_f32_e32 v34, v18, v8
	v_fma_f32 v8, v8, v19, -v9
	v_fma_f32 v9, v10, v1, -v11
	v_fmac_f32_e32 v38, v2, v12
	v_fma_f32 v12, v12, v3, -v13
	v_cvt_f64_f32_e32 v[0:1], v34
	v_cvt_f64_f32_e32 v[2:3], v8
	v_fma_f32 v18, v14, v5, -v15
	v_cvt_f64_f32_e32 v[4:5], v35
	v_cvt_f64_f32_e32 v[8:9], v9
	;; [unrolled: 1-line block ×4, first 2 shown]
	v_mul_f64 v[0:1], v[0:1], s[0:1]
	v_mul_f64 v[2:3], v[2:3], s[0:1]
	;; [unrolled: 1-line block ×6, first 2 shown]
	v_mul_f32_e32 v40, v7, v17
	v_fmac_f32_e32 v40, v6, v16
	v_cvt_f32_f64_e32 v0, v[0:1]
	v_cvt_f32_f64_e32 v1, v[2:3]
	;; [unrolled: 1-line block ×6, first 2 shown]
	global_store_dwordx2 v[20:21], v[0:1], off
	global_store_dwordx2 v[22:23], v[2:3], off
	;; [unrolled: 1-line block ×3, first 2 shown]
	v_cvt_f64_f32_e32 v[0:1], v40
	s_movk_i32 s4, 0x1000
	v_cvt_f64_f32_e32 v[14:15], v39
	v_cvt_f64_f32_e32 v[18:19], v18
	v_mul_f64 v[8:9], v[0:1], s[0:1]
	v_mul_f32_e32 v0, v6, v17
	v_add_co_u32_e32 v6, vcc, s4, v36
	v_fma_f32 v0, v16, v7, -v0
	v_addc_co_u32_e32 v7, vcc, 0, v37, vcc
	global_load_dwordx2 v[10:11], v[6:7], off offset:224
	v_mul_f64 v[14:15], v[14:15], s[0:1]
	global_load_dwordx2 v[6:7], v[6:7], off offset:704
	v_mul_f64 v[18:19], v[18:19], s[0:1]
	v_cvt_f64_f32_e32 v[0:1], v0
	v_add_u32_e32 v16, 0x800, v59
	v_mov_b32_e32 v17, s3
	v_mul_f64 v[12:13], v[0:1], s[0:1]
	ds_read2_b64 v[0:3], v16 offset0:44 offset1:104
	v_cvt_f32_f64_e32 v4, v[14:15]
	v_cvt_f32_f64_e32 v5, v[18:19]
	v_mov_b32_e32 v15, s3
	v_add_co_u32_e32 v14, vcc, s2, v32
	v_addc_co_u32_e32 v15, vcc, v33, v15, vcc
	global_store_dwordx2 v[14:15], v[4:5], off
	s_waitcnt lgkmcnt(0)
	v_mul_f32_e32 v5, v1, v25
	v_fmac_f32_e32 v5, v0, v24
	v_mul_f32_e32 v0, v0, v25
	v_fma_f32 v0, v24, v1, -v0
	v_cvt_f32_f64_e32 v4, v[8:9]
	v_cvt_f64_f32_e32 v[8:9], v5
	v_cvt_f64_f32_e32 v[0:1], v0
	v_cvt_f32_f64_e32 v5, v[12:13]
	v_mov_b32_e32 v13, s3
	v_add_co_u32_e32 v12, vcc, s2, v14
	v_mul_f64 v[8:9], v[8:9], s[0:1]
	v_addc_co_u32_e32 v13, vcc, v15, v13, vcc
	v_mul_f64 v[0:1], v[0:1], s[0:1]
	global_store_dwordx2 v[12:13], v[4:5], off
	s_waitcnt vmcnt(9)
	v_mul_f32_e32 v5, v3, v27
	v_fmac_f32_e32 v5, v2, v26
	v_mul_f32_e32 v2, v2, v27
	v_fma_f32 v2, v26, v3, -v2
	v_cvt_f64_f32_e32 v[2:3], v2
	v_cvt_f32_f64_e32 v4, v[8:9]
	v_cvt_f64_f32_e32 v[8:9], v5
	v_cvt_f32_f64_e32 v5, v[0:1]
	v_mul_f64 v[14:15], v[2:3], s[0:1]
	ds_read2_b64 v[0:3], v16 offset0:164 offset1:224
	v_add_co_u32_e32 v12, vcc, s2, v12
	v_addc_co_u32_e32 v13, vcc, v13, v17, vcc
	global_store_dwordx2 v[12:13], v[4:5], off
	s_waitcnt vmcnt(9) lgkmcnt(0)
	v_mul_f32_e32 v4, v1, v29
	v_fmac_f32_e32 v4, v0, v28
	v_cvt_f64_f32_e32 v[4:5], v4
	v_mul_f64 v[8:9], v[8:9], s[0:1]
	v_mul_f32_e32 v0, v0, v29
	v_fma_f32 v0, v28, v1, -v0
	v_mul_f64 v[4:5], v[4:5], s[0:1]
	v_cvt_f64_f32_e32 v[0:1], v0
	v_add_co_u32_e32 v12, vcc, s2, v12
	v_cvt_f32_f64_e32 v8, v[8:9]
	v_cvt_f32_f64_e32 v9, v[14:15]
	v_mul_f64 v[0:1], v[0:1], s[0:1]
	v_mov_b32_e32 v14, s3
	v_cvt_f32_f64_e32 v4, v[4:5]
	s_waitcnt vmcnt(8)
	v_mul_f32_e32 v5, v3, v31
	v_addc_co_u32_e32 v13, vcc, v13, v14, vcc
	v_fmac_f32_e32 v5, v2, v30
	global_store_dwordx2 v[12:13], v[8:9], off
	v_cvt_f64_f32_e32 v[8:9], v5
	v_mul_f32_e32 v2, v2, v31
	v_fma_f32 v2, v30, v3, -v2
	v_cvt_f64_f32_e32 v[2:3], v2
	v_mul_f64 v[8:9], v[8:9], s[0:1]
	v_cvt_f32_f64_e32 v5, v[0:1]
	v_mov_b32_e32 v0, s3
	v_add_co_u32_e32 v12, vcc, s2, v12
	v_addc_co_u32_e32 v13, vcc, v13, v0, vcc
	v_add_u32_e32 v0, 0x1000, v59
	v_mul_f64 v[14:15], v[2:3], s[0:1]
	ds_read2_b64 v[0:3], v0 offset0:28 offset1:88
	global_store_dwordx2 v[12:13], v[4:5], off
	v_cvt_f32_f64_e32 v4, v[8:9]
	s_waitcnt vmcnt(6) lgkmcnt(0)
	v_mul_f32_e32 v8, v1, v11
	v_fmac_f32_e32 v8, v0, v10
	v_mul_f32_e32 v0, v0, v11
	v_fma_f32 v0, v10, v1, -v0
	v_cvt_f32_f64_e32 v5, v[14:15]
	v_cvt_f64_f32_e32 v[8:9], v8
	v_cvt_f64_f32_e32 v[0:1], v0
	v_mov_b32_e32 v14, s3
	v_add_co_u32_e32 v10, vcc, s2, v12
	v_addc_co_u32_e32 v11, vcc, v13, v14, vcc
	global_store_dwordx2 v[10:11], v[4:5], off
	v_mul_f64 v[4:5], v[8:9], s[0:1]
	v_mul_f64 v[0:1], v[0:1], s[0:1]
	s_waitcnt vmcnt(6)
	v_mul_f32_e32 v8, v3, v7
	v_fmac_f32_e32 v8, v2, v6
	v_mul_f32_e32 v2, v2, v7
	v_fma_f32 v2, v6, v3, -v2
	v_cvt_f64_f32_e32 v[8:9], v8
	v_cvt_f64_f32_e32 v[2:3], v2
	v_cvt_f32_f64_e32 v4, v[4:5]
	v_cvt_f32_f64_e32 v5, v[0:1]
	v_mul_f64 v[0:1], v[8:9], s[0:1]
	v_mul_f64 v[2:3], v[2:3], s[0:1]
	v_mov_b32_e32 v7, s3
	v_add_co_u32_e32 v6, vcc, s2, v10
	v_addc_co_u32_e32 v7, vcc, v11, v7, vcc
	global_store_dwordx2 v[6:7], v[4:5], off
	v_cvt_f32_f64_e32 v0, v[0:1]
	v_cvt_f32_f64_e32 v1, v[2:3]
	v_mov_b32_e32 v3, s3
	v_add_co_u32_e32 v2, vcc, s2, v6
	v_addc_co_u32_e32 v3, vcc, v7, v3, vcc
	global_store_dwordx2 v[2:3], v[0:1], off
.LBB0_23:
	s_endpgm
	.section	.rodata,"a",@progbits
	.p2align	6, 0x0
	.amdhsa_kernel bluestein_single_back_len660_dim1_sp_op_CI_CI
		.amdhsa_group_segment_fixed_size 5280
		.amdhsa_private_segment_fixed_size 0
		.amdhsa_kernarg_size 104
		.amdhsa_user_sgpr_count 6
		.amdhsa_user_sgpr_private_segment_buffer 1
		.amdhsa_user_sgpr_dispatch_ptr 0
		.amdhsa_user_sgpr_queue_ptr 0
		.amdhsa_user_sgpr_kernarg_segment_ptr 1
		.amdhsa_user_sgpr_dispatch_id 0
		.amdhsa_user_sgpr_flat_scratch_init 0
		.amdhsa_user_sgpr_private_segment_size 0
		.amdhsa_uses_dynamic_stack 0
		.amdhsa_system_sgpr_private_segment_wavefront_offset 0
		.amdhsa_system_sgpr_workgroup_id_x 1
		.amdhsa_system_sgpr_workgroup_id_y 0
		.amdhsa_system_sgpr_workgroup_id_z 0
		.amdhsa_system_sgpr_workgroup_info 0
		.amdhsa_system_vgpr_workitem_id 0
		.amdhsa_next_free_vgpr 150
		.amdhsa_next_free_sgpr 19
		.amdhsa_reserve_vcc 1
		.amdhsa_reserve_flat_scratch 0
		.amdhsa_float_round_mode_32 0
		.amdhsa_float_round_mode_16_64 0
		.amdhsa_float_denorm_mode_32 3
		.amdhsa_float_denorm_mode_16_64 3
		.amdhsa_dx10_clamp 1
		.amdhsa_ieee_mode 1
		.amdhsa_fp16_overflow 0
		.amdhsa_exception_fp_ieee_invalid_op 0
		.amdhsa_exception_fp_denorm_src 0
		.amdhsa_exception_fp_ieee_div_zero 0
		.amdhsa_exception_fp_ieee_overflow 0
		.amdhsa_exception_fp_ieee_underflow 0
		.amdhsa_exception_fp_ieee_inexact 0
		.amdhsa_exception_int_div_zero 0
	.end_amdhsa_kernel
	.text
.Lfunc_end0:
	.size	bluestein_single_back_len660_dim1_sp_op_CI_CI, .Lfunc_end0-bluestein_single_back_len660_dim1_sp_op_CI_CI
                                        ; -- End function
	.section	.AMDGPU.csdata,"",@progbits
; Kernel info:
; codeLenInByte = 10720
; NumSgprs: 23
; NumVgprs: 150
; ScratchSize: 0
; MemoryBound: 0
; FloatMode: 240
; IeeeMode: 1
; LDSByteSize: 5280 bytes/workgroup (compile time only)
; SGPRBlocks: 2
; VGPRBlocks: 37
; NumSGPRsForWavesPerEU: 23
; NumVGPRsForWavesPerEU: 150
; Occupancy: 1
; WaveLimiterHint : 1
; COMPUTE_PGM_RSRC2:SCRATCH_EN: 0
; COMPUTE_PGM_RSRC2:USER_SGPR: 6
; COMPUTE_PGM_RSRC2:TRAP_HANDLER: 0
; COMPUTE_PGM_RSRC2:TGID_X_EN: 1
; COMPUTE_PGM_RSRC2:TGID_Y_EN: 0
; COMPUTE_PGM_RSRC2:TGID_Z_EN: 0
; COMPUTE_PGM_RSRC2:TIDIG_COMP_CNT: 0
	.type	__hip_cuid_bc509b666f9a1f0e,@object ; @__hip_cuid_bc509b666f9a1f0e
	.section	.bss,"aw",@nobits
	.globl	__hip_cuid_bc509b666f9a1f0e
__hip_cuid_bc509b666f9a1f0e:
	.byte	0                               ; 0x0
	.size	__hip_cuid_bc509b666f9a1f0e, 1

	.ident	"AMD clang version 19.0.0git (https://github.com/RadeonOpenCompute/llvm-project roc-6.4.0 25133 c7fe45cf4b819c5991fe208aaa96edf142730f1d)"
	.section	".note.GNU-stack","",@progbits
	.addrsig
	.addrsig_sym __hip_cuid_bc509b666f9a1f0e
	.amdgpu_metadata
---
amdhsa.kernels:
  - .args:
      - .actual_access:  read_only
        .address_space:  global
        .offset:         0
        .size:           8
        .value_kind:     global_buffer
      - .actual_access:  read_only
        .address_space:  global
        .offset:         8
        .size:           8
        .value_kind:     global_buffer
      - .actual_access:  read_only
        .address_space:  global
        .offset:         16
        .size:           8
        .value_kind:     global_buffer
      - .actual_access:  read_only
        .address_space:  global
        .offset:         24
        .size:           8
        .value_kind:     global_buffer
      - .actual_access:  read_only
        .address_space:  global
        .offset:         32
        .size:           8
        .value_kind:     global_buffer
      - .offset:         40
        .size:           8
        .value_kind:     by_value
      - .address_space:  global
        .offset:         48
        .size:           8
        .value_kind:     global_buffer
      - .address_space:  global
        .offset:         56
        .size:           8
        .value_kind:     global_buffer
      - .address_space:  global
        .offset:         64
        .size:           8
        .value_kind:     global_buffer
      - .address_space:  global
        .offset:         72
        .size:           8
        .value_kind:     global_buffer
      - .offset:         80
        .size:           4
        .value_kind:     by_value
      - .address_space:  global
        .offset:         88
        .size:           8
        .value_kind:     global_buffer
      - .address_space:  global
        .offset:         96
        .size:           8
        .value_kind:     global_buffer
    .group_segment_fixed_size: 5280
    .kernarg_segment_align: 8
    .kernarg_segment_size: 104
    .language:       OpenCL C
    .language_version:
      - 2
      - 0
    .max_flat_workgroup_size: 110
    .name:           bluestein_single_back_len660_dim1_sp_op_CI_CI
    .private_segment_fixed_size: 0
    .sgpr_count:     23
    .sgpr_spill_count: 0
    .symbol:         bluestein_single_back_len660_dim1_sp_op_CI_CI.kd
    .uniform_work_group_size: 1
    .uses_dynamic_stack: false
    .vgpr_count:     150
    .vgpr_spill_count: 0
    .wavefront_size: 64
amdhsa.target:   amdgcn-amd-amdhsa--gfx906
amdhsa.version:
  - 1
  - 2
...

	.end_amdgpu_metadata
